;; amdgpu-corpus repo=ROCm/rocFFT kind=compiled arch=gfx1201 opt=O3
	.text
	.amdgcn_target "amdgcn-amd-amdhsa--gfx1201"
	.amdhsa_code_object_version 6
	.protected	fft_rtc_back_len1400_factors_2_2_2_5_7_5_wgs_56_tpt_56_halfLds_half_op_CI_CI_unitstride_sbrr_dirReg ; -- Begin function fft_rtc_back_len1400_factors_2_2_2_5_7_5_wgs_56_tpt_56_halfLds_half_op_CI_CI_unitstride_sbrr_dirReg
	.globl	fft_rtc_back_len1400_factors_2_2_2_5_7_5_wgs_56_tpt_56_halfLds_half_op_CI_CI_unitstride_sbrr_dirReg
	.p2align	8
	.type	fft_rtc_back_len1400_factors_2_2_2_5_7_5_wgs_56_tpt_56_halfLds_half_op_CI_CI_unitstride_sbrr_dirReg,@function
fft_rtc_back_len1400_factors_2_2_2_5_7_5_wgs_56_tpt_56_halfLds_half_op_CI_CI_unitstride_sbrr_dirReg: ; @fft_rtc_back_len1400_factors_2_2_2_5_7_5_wgs_56_tpt_56_halfLds_half_op_CI_CI_unitstride_sbrr_dirReg
; %bb.0:
	s_clause 0x2
	s_load_b128 s[8:11], s[0:1], 0x0
	s_load_b128 s[4:7], s[0:1], 0x58
	;; [unrolled: 1-line block ×3, first 2 shown]
	v_mul_u32_u24_e32 v1, 0x493, v0
	v_mov_b32_e32 v7, 0
	v_mov_b32_e32 v5, 0
	;; [unrolled: 1-line block ×3, first 2 shown]
	s_delay_alu instid0(VALU_DEP_4) | instskip(NEXT) | instid1(VALU_DEP_1)
	v_lshrrev_b32_e32 v1, 16, v1
	v_dual_mov_b32 v10, v7 :: v_dual_add_nc_u32 v9, ttmp9, v1
	s_wait_kmcnt 0x0
	v_cmp_lt_u64_e64 s2, s[10:11], 2
	s_delay_alu instid0(VALU_DEP_1)
	s_and_b32 vcc_lo, exec_lo, s2
	s_cbranch_vccnz .LBB0_8
; %bb.1:
	s_load_b64 s[2:3], s[0:1], 0x10
	v_mov_b32_e32 v5, 0
	v_mov_b32_e32 v6, 0
	s_delay_alu instid0(VALU_DEP_2)
	v_mov_b32_e32 v1, v5
	s_add_nc_u64 s[16:17], s[14:15], 8
	s_add_nc_u64 s[18:19], s[12:13], 8
	s_mov_b64 s[20:21], 1
	v_mov_b32_e32 v2, v6
	s_wait_kmcnt 0x0
	s_add_nc_u64 s[22:23], s[2:3], 8
	s_mov_b32 s3, 0
.LBB0_2:                                ; =>This Inner Loop Header: Depth=1
	s_load_b64 s[24:25], s[22:23], 0x0
                                        ; implicit-def: $vgpr3_vgpr4
	s_mov_b32 s2, exec_lo
	s_wait_kmcnt 0x0
	v_or_b32_e32 v8, s25, v10
	s_delay_alu instid0(VALU_DEP_1)
	v_cmpx_ne_u64_e32 0, v[7:8]
	s_wait_alu 0xfffe
	s_xor_b32 s26, exec_lo, s2
	s_cbranch_execz .LBB0_4
; %bb.3:                                ;   in Loop: Header=BB0_2 Depth=1
	s_cvt_f32_u32 s2, s24
	s_cvt_f32_u32 s27, s25
	s_sub_nc_u64 s[30:31], 0, s[24:25]
	s_wait_alu 0xfffe
	s_delay_alu instid0(SALU_CYCLE_1) | instskip(SKIP_1) | instid1(SALU_CYCLE_2)
	s_fmamk_f32 s2, s27, 0x4f800000, s2
	s_wait_alu 0xfffe
	v_s_rcp_f32 s2, s2
	s_delay_alu instid0(TRANS32_DEP_1) | instskip(SKIP_1) | instid1(SALU_CYCLE_2)
	s_mul_f32 s2, s2, 0x5f7ffffc
	s_wait_alu 0xfffe
	s_mul_f32 s27, s2, 0x2f800000
	s_wait_alu 0xfffe
	s_delay_alu instid0(SALU_CYCLE_2) | instskip(SKIP_1) | instid1(SALU_CYCLE_2)
	s_trunc_f32 s27, s27
	s_wait_alu 0xfffe
	s_fmamk_f32 s2, s27, 0xcf800000, s2
	s_cvt_u32_f32 s29, s27
	s_wait_alu 0xfffe
	s_delay_alu instid0(SALU_CYCLE_1) | instskip(SKIP_1) | instid1(SALU_CYCLE_2)
	s_cvt_u32_f32 s28, s2
	s_wait_alu 0xfffe
	s_mul_u64 s[34:35], s[30:31], s[28:29]
	s_wait_alu 0xfffe
	s_mul_hi_u32 s37, s28, s35
	s_mul_i32 s36, s28, s35
	s_mul_hi_u32 s2, s28, s34
	s_mul_i32 s33, s29, s34
	s_wait_alu 0xfffe
	s_add_nc_u64 s[36:37], s[2:3], s[36:37]
	s_mul_hi_u32 s27, s29, s34
	s_mul_hi_u32 s38, s29, s35
	s_add_co_u32 s2, s36, s33
	s_wait_alu 0xfffe
	s_add_co_ci_u32 s2, s37, s27
	s_mul_i32 s34, s29, s35
	s_add_co_ci_u32 s35, s38, 0
	s_wait_alu 0xfffe
	s_add_nc_u64 s[34:35], s[2:3], s[34:35]
	s_wait_alu 0xfffe
	v_add_co_u32 v3, s2, s28, s34
	s_delay_alu instid0(VALU_DEP_1) | instskip(SKIP_1) | instid1(VALU_DEP_1)
	s_cmp_lg_u32 s2, 0
	s_add_co_ci_u32 s29, s29, s35
	v_readfirstlane_b32 s28, v3
	s_wait_alu 0xfffe
	s_delay_alu instid0(VALU_DEP_1)
	s_mul_u64 s[30:31], s[30:31], s[28:29]
	s_wait_alu 0xfffe
	s_mul_hi_u32 s35, s28, s31
	s_mul_i32 s34, s28, s31
	s_mul_hi_u32 s2, s28, s30
	s_mul_i32 s33, s29, s30
	s_wait_alu 0xfffe
	s_add_nc_u64 s[34:35], s[2:3], s[34:35]
	s_mul_hi_u32 s27, s29, s30
	s_mul_hi_u32 s28, s29, s31
	s_wait_alu 0xfffe
	s_add_co_u32 s2, s34, s33
	s_add_co_ci_u32 s2, s35, s27
	s_mul_i32 s30, s29, s31
	s_add_co_ci_u32 s31, s28, 0
	s_wait_alu 0xfffe
	s_add_nc_u64 s[30:31], s[2:3], s[30:31]
	s_wait_alu 0xfffe
	v_add_co_u32 v8, s2, v3, s30
	s_delay_alu instid0(VALU_DEP_1) | instskip(SKIP_1) | instid1(VALU_DEP_1)
	s_cmp_lg_u32 s2, 0
	s_add_co_ci_u32 s2, s29, s31
	v_mul_hi_u32 v15, v9, v8
	s_wait_alu 0xfffe
	v_mad_co_u64_u32 v[3:4], null, v9, s2, 0
	v_mad_co_u64_u32 v[11:12], null, v10, v8, 0
	;; [unrolled: 1-line block ×3, first 2 shown]
	s_delay_alu instid0(VALU_DEP_3) | instskip(SKIP_1) | instid1(VALU_DEP_4)
	v_add_co_u32 v3, vcc_lo, v15, v3
	s_wait_alu 0xfffd
	v_add_co_ci_u32_e32 v4, vcc_lo, 0, v4, vcc_lo
	s_delay_alu instid0(VALU_DEP_2) | instskip(SKIP_1) | instid1(VALU_DEP_2)
	v_add_co_u32 v3, vcc_lo, v3, v11
	s_wait_alu 0xfffd
	v_add_co_ci_u32_e32 v3, vcc_lo, v4, v12, vcc_lo
	s_wait_alu 0xfffd
	v_add_co_ci_u32_e32 v4, vcc_lo, 0, v14, vcc_lo
	s_delay_alu instid0(VALU_DEP_2) | instskip(SKIP_1) | instid1(VALU_DEP_2)
	v_add_co_u32 v8, vcc_lo, v3, v13
	s_wait_alu 0xfffd
	v_add_co_ci_u32_e32 v11, vcc_lo, 0, v4, vcc_lo
	s_delay_alu instid0(VALU_DEP_2) | instskip(SKIP_1) | instid1(VALU_DEP_3)
	v_mul_lo_u32 v12, s25, v8
	v_mad_co_u64_u32 v[3:4], null, s24, v8, 0
	v_mul_lo_u32 v13, s24, v11
	s_delay_alu instid0(VALU_DEP_2) | instskip(NEXT) | instid1(VALU_DEP_2)
	v_sub_co_u32 v3, vcc_lo, v9, v3
	v_add3_u32 v4, v4, v13, v12
	s_delay_alu instid0(VALU_DEP_1) | instskip(SKIP_1) | instid1(VALU_DEP_1)
	v_sub_nc_u32_e32 v12, v10, v4
	s_wait_alu 0xfffd
	v_subrev_co_ci_u32_e64 v12, s2, s25, v12, vcc_lo
	v_add_co_u32 v13, s2, v8, 2
	s_wait_alu 0xf1ff
	v_add_co_ci_u32_e64 v14, s2, 0, v11, s2
	v_sub_co_u32 v15, s2, v3, s24
	v_sub_co_ci_u32_e32 v4, vcc_lo, v10, v4, vcc_lo
	s_wait_alu 0xf1ff
	v_subrev_co_ci_u32_e64 v12, s2, 0, v12, s2
	s_delay_alu instid0(VALU_DEP_3) | instskip(NEXT) | instid1(VALU_DEP_3)
	v_cmp_le_u32_e32 vcc_lo, s24, v15
	v_cmp_eq_u32_e64 s2, s25, v4
	s_wait_alu 0xfffd
	v_cndmask_b32_e64 v15, 0, -1, vcc_lo
	v_cmp_le_u32_e32 vcc_lo, s25, v12
	s_wait_alu 0xfffd
	v_cndmask_b32_e64 v16, 0, -1, vcc_lo
	v_cmp_le_u32_e32 vcc_lo, s24, v3
	;; [unrolled: 3-line block ×3, first 2 shown]
	s_wait_alu 0xfffd
	v_cndmask_b32_e64 v17, 0, -1, vcc_lo
	v_cmp_eq_u32_e32 vcc_lo, s25, v12
	s_wait_alu 0xf1ff
	s_delay_alu instid0(VALU_DEP_2)
	v_cndmask_b32_e64 v3, v17, v3, s2
	s_wait_alu 0xfffd
	v_cndmask_b32_e32 v12, v16, v15, vcc_lo
	v_add_co_u32 v15, vcc_lo, v8, 1
	s_wait_alu 0xfffd
	v_add_co_ci_u32_e32 v16, vcc_lo, 0, v11, vcc_lo
	s_delay_alu instid0(VALU_DEP_3) | instskip(SKIP_1) | instid1(VALU_DEP_2)
	v_cmp_ne_u32_e32 vcc_lo, 0, v12
	s_wait_alu 0xfffd
	v_cndmask_b32_e32 v4, v16, v14, vcc_lo
	v_cndmask_b32_e32 v12, v15, v13, vcc_lo
	v_cmp_ne_u32_e32 vcc_lo, 0, v3
	s_wait_alu 0xfffd
	s_delay_alu instid0(VALU_DEP_3) | instskip(NEXT) | instid1(VALU_DEP_3)
	v_cndmask_b32_e32 v4, v11, v4, vcc_lo
	v_cndmask_b32_e32 v3, v8, v12, vcc_lo
.LBB0_4:                                ;   in Loop: Header=BB0_2 Depth=1
	s_wait_alu 0xfffe
	s_and_not1_saveexec_b32 s2, s26
	s_cbranch_execz .LBB0_6
; %bb.5:                                ;   in Loop: Header=BB0_2 Depth=1
	v_cvt_f32_u32_e32 v3, s24
	s_sub_co_i32 s26, 0, s24
	s_delay_alu instid0(VALU_DEP_1) | instskip(NEXT) | instid1(TRANS32_DEP_1)
	v_rcp_iflag_f32_e32 v3, v3
	v_mul_f32_e32 v3, 0x4f7ffffe, v3
	s_delay_alu instid0(VALU_DEP_1) | instskip(SKIP_1) | instid1(VALU_DEP_1)
	v_cvt_u32_f32_e32 v3, v3
	s_wait_alu 0xfffe
	v_mul_lo_u32 v4, s26, v3
	s_delay_alu instid0(VALU_DEP_1) | instskip(NEXT) | instid1(VALU_DEP_1)
	v_mul_hi_u32 v4, v3, v4
	v_add_nc_u32_e32 v3, v3, v4
	s_delay_alu instid0(VALU_DEP_1) | instskip(NEXT) | instid1(VALU_DEP_1)
	v_mul_hi_u32 v3, v9, v3
	v_mul_lo_u32 v4, v3, s24
	v_add_nc_u32_e32 v8, 1, v3
	s_delay_alu instid0(VALU_DEP_2) | instskip(NEXT) | instid1(VALU_DEP_1)
	v_sub_nc_u32_e32 v4, v9, v4
	v_subrev_nc_u32_e32 v11, s24, v4
	v_cmp_le_u32_e32 vcc_lo, s24, v4
	s_wait_alu 0xfffd
	s_delay_alu instid0(VALU_DEP_2) | instskip(NEXT) | instid1(VALU_DEP_1)
	v_dual_cndmask_b32 v4, v4, v11 :: v_dual_cndmask_b32 v3, v3, v8
	v_cmp_le_u32_e32 vcc_lo, s24, v4
	s_delay_alu instid0(VALU_DEP_2) | instskip(SKIP_2) | instid1(VALU_DEP_2)
	v_add_nc_u32_e32 v8, 1, v3
	v_mov_b32_e32 v4, v7
	s_wait_alu 0xfffd
	v_cndmask_b32_e32 v3, v3, v8, vcc_lo
.LBB0_6:                                ;   in Loop: Header=BB0_2 Depth=1
	s_wait_alu 0xfffe
	s_or_b32 exec_lo, exec_lo, s2
	v_mul_lo_u32 v8, v4, s24
	s_delay_alu instid0(VALU_DEP_2)
	v_mul_lo_u32 v13, v3, s25
	s_load_b64 s[26:27], s[18:19], 0x0
	v_mad_co_u64_u32 v[11:12], null, v3, s24, 0
	s_load_b64 s[24:25], s[16:17], 0x0
	s_add_nc_u64 s[20:21], s[20:21], 1
	s_add_nc_u64 s[16:17], s[16:17], 8
	s_wait_alu 0xfffe
	v_cmp_ge_u64_e64 s2, s[20:21], s[10:11]
	s_add_nc_u64 s[18:19], s[18:19], 8
	s_add_nc_u64 s[22:23], s[22:23], 8
	v_add3_u32 v8, v12, v13, v8
	v_sub_co_u32 v9, vcc_lo, v9, v11
	s_wait_alu 0xfffd
	s_delay_alu instid0(VALU_DEP_2) | instskip(SKIP_2) | instid1(VALU_DEP_1)
	v_sub_co_ci_u32_e32 v8, vcc_lo, v10, v8, vcc_lo
	s_and_b32 vcc_lo, exec_lo, s2
	s_wait_kmcnt 0x0
	v_mul_lo_u32 v10, s26, v8
	v_mul_lo_u32 v11, s27, v9
	v_mad_co_u64_u32 v[5:6], null, s26, v9, v[5:6]
	v_mul_lo_u32 v8, s24, v8
	v_mul_lo_u32 v12, s25, v9
	v_mad_co_u64_u32 v[1:2], null, s24, v9, v[1:2]
	s_delay_alu instid0(VALU_DEP_4) | instskip(NEXT) | instid1(VALU_DEP_2)
	v_add3_u32 v6, v11, v6, v10
	v_add3_u32 v2, v12, v2, v8
	s_wait_alu 0xfffe
	s_cbranch_vccnz .LBB0_9
; %bb.7:                                ;   in Loop: Header=BB0_2 Depth=1
	v_dual_mov_b32 v10, v4 :: v_dual_mov_b32 v9, v3
	s_branch .LBB0_2
.LBB0_8:
	v_dual_mov_b32 v1, v5 :: v_dual_mov_b32 v2, v6
	v_dual_mov_b32 v3, v9 :: v_dual_mov_b32 v4, v10
.LBB0_9:
	s_load_b64 s[0:1], s[0:1], 0x28
	v_mul_hi_u32 v51, 0x4924925, v0
	s_lshl_b64 s[10:11], s[10:11], 3
                                        ; implicit-def: $vgpr7
                                        ; implicit-def: $vgpr12
	s_wait_alu 0xfffe
	s_add_nc_u64 s[2:3], s[14:15], s[10:11]
                                        ; implicit-def: $sgpr14
	s_wait_kmcnt 0x0
	v_cmp_gt_u64_e32 vcc_lo, s[0:1], v[3:4]
	v_cmp_le_u64_e64 s0, s[0:1], v[3:4]
	s_delay_alu instid0(VALU_DEP_1)
	s_and_saveexec_b32 s1, s0
	s_wait_alu 0xfffe
	s_xor_b32 s0, exec_lo, s1
; %bb.10:
	v_mul_u32_u24_e32 v5, 56, v51
	s_mov_b32 s14, 0
                                        ; implicit-def: $vgpr51
	s_delay_alu instid0(VALU_DEP_1) | instskip(NEXT) | instid1(VALU_DEP_1)
	v_sub_nc_u32_e32 v7, v0, v5
                                        ; implicit-def: $vgpr0
                                        ; implicit-def: $vgpr5_vgpr6
	v_or_b32_e32 v12, 0x1c0, v7
; %bb.11:
	s_wait_alu 0xfffe
	s_or_saveexec_b32 s1, s0
	s_load_b64 s[2:3], s[2:3], 0x0
	v_mov_b32_e32 v13, s14
	v_mov_b32_e32 v9, s14
                                        ; implicit-def: $vgpr14
                                        ; implicit-def: $vgpr8
                                        ; implicit-def: $vgpr17
                                        ; implicit-def: $vgpr36
                                        ; implicit-def: $vgpr16
                                        ; implicit-def: $vgpr10
                                        ; implicit-def: $vgpr20
                                        ; implicit-def: $vgpr11
                                        ; implicit-def: $vgpr19
                                        ; implicit-def: $vgpr27
                                        ; implicit-def: $vgpr22
                                        ; implicit-def: $vgpr29
                                        ; implicit-def: $vgpr18
                                        ; implicit-def: $vgpr26
                                        ; implicit-def: $vgpr23
                                        ; implicit-def: $vgpr31
                                        ; implicit-def: $vgpr21
                                        ; implicit-def: $vgpr28
                                        ; implicit-def: $vgpr25
                                        ; implicit-def: $vgpr39
                                        ; implicit-def: $vgpr24
                                        ; implicit-def: $vgpr30
                                        ; implicit-def: $vgpr40
                                        ; implicit-def: $vgpr43
                                        ; implicit-def: $vgpr38
                                        ; implicit-def: $vgpr32
                                        ; implicit-def: $vgpr55
                                        ; implicit-def: $vgpr44
                                        ; implicit-def: $vgpr54
                                        ; implicit-def: $vgpr34
                                        ; implicit-def: $vgpr57
                                        ; implicit-def: $vgpr45
                                        ; implicit-def: $vgpr42
                                        ; implicit-def: $vgpr33
                                        ; implicit-def: $vgpr58
                                        ; implicit-def: $vgpr46
                                        ; implicit-def: $vgpr56
                                        ; implicit-def: $vgpr35
                                        ; implicit-def: $vgpr60
                                        ; implicit-def: $vgpr47
                                        ; implicit-def: $vgpr59
                                        ; implicit-def: $vgpr37
                                        ; implicit-def: $vgpr62
                                        ; implicit-def: $vgpr48
                                        ; implicit-def: $vgpr61
                                        ; implicit-def: $vgpr41
                                        ; implicit-def: $vgpr63
                                        ; implicit-def: $vgpr49
                                        ; implicit-def: $vgpr15
                                        ; implicit-def: $vgpr50
	s_xor_b32 exec_lo, exec_lo, s1
	s_cbranch_execz .LBB0_15
; %bb.12:
	s_add_nc_u64 s[10:11], s[12:13], s[10:11]
	v_lshlrev_b64_e32 v[5:6], 2, v[5:6]
	s_load_b64 s[10:11], s[10:11], 0x0
	v_mov_b32_e32 v13, 0
                                        ; implicit-def: $vgpr50
                                        ; implicit-def: $vgpr15
	s_wait_kmcnt 0x0
	v_mul_lo_u32 v9, s11, v3
	v_mul_lo_u32 v10, s10, v4
	v_mad_co_u64_u32 v[7:8], null, s10, v3, 0
	s_delay_alu instid0(VALU_DEP_1) | instskip(SKIP_1) | instid1(VALU_DEP_2)
	v_add3_u32 v8, v8, v10, v9
	v_mul_u32_u24_e32 v10, 56, v51
	v_lshlrev_b64_e32 v[8:9], 2, v[7:8]
	s_delay_alu instid0(VALU_DEP_2) | instskip(NEXT) | instid1(VALU_DEP_2)
	v_sub_nc_u32_e32 v7, v0, v10
	v_add_co_u32 v0, s0, s4, v8
	s_wait_alu 0xf1ff
	s_delay_alu instid0(VALU_DEP_3) | instskip(NEXT) | instid1(VALU_DEP_3)
	v_add_co_ci_u32_e64 v8, s0, s5, v9, s0
	v_lshlrev_b32_e32 v9, 2, v7
	s_delay_alu instid0(VALU_DEP_3) | instskip(SKIP_1) | instid1(VALU_DEP_3)
	v_add_co_u32 v0, s0, v0, v5
	s_wait_alu 0xf1ff
	v_add_co_ci_u32_e64 v6, s0, v8, v6, s0
	s_mov_b32 s4, exec_lo
	s_delay_alu instid0(VALU_DEP_2) | instskip(SKIP_1) | instid1(VALU_DEP_2)
	v_add_co_u32 v5, s0, v0, v9
	s_wait_alu 0xf1ff
	v_add_co_ci_u32_e64 v6, s0, 0, v6, s0
	v_mov_b32_e32 v9, 0
	s_clause 0x17
	global_load_b32 v11, v[5:6], off offset:3024
	global_load_b32 v29, v[5:6], off offset:3248
	;; [unrolled: 1-line block ×3, first 2 shown]
	global_load_b32 v8, v[5:6], off
	global_load_b32 v10, v[5:6], off offset:224
	global_load_b32 v27, v[5:6], off offset:448
	;; [unrolled: 1-line block ×20, first 2 shown]
	v_cmpx_gt_u32_e32 28, v7
	s_cbranch_execz .LBB0_14
; %bb.13:
	s_clause 0x1
	global_load_b32 v9, v[5:6], off offset:2688
	global_load_b32 v50, v[5:6], off offset:5488
	s_wait_loadcnt 0x1
	v_lshrrev_b32_e32 v13, 16, v9
	s_wait_loadcnt 0x0
	v_lshrrev_b32_e32 v15, 16, v50
.LBB0_14:
	s_wait_alu 0xfffe
	s_or_b32 exec_lo, exec_lo, s4
	s_wait_loadcnt 0x14
	v_lshrrev_b32_e32 v14, 16, v8
	s_wait_loadcnt 0x9
	v_lshrrev_b32_e32 v17, 16, v36
	v_lshrrev_b32_e32 v16, 16, v10
	v_lshrrev_b32_e32 v20, 16, v11
	v_lshrrev_b32_e32 v19, 16, v27
	v_lshrrev_b32_e32 v22, 16, v29
	v_lshrrev_b32_e32 v18, 16, v26
	v_lshrrev_b32_e32 v23, 16, v31
	v_lshrrev_b32_e32 v21, 16, v28
	s_wait_loadcnt 0x7
	v_lshrrev_b32_e32 v25, 16, v39
	v_lshrrev_b32_e32 v24, 16, v30
	s_wait_loadcnt 0x6
	v_lshrrev_b32_e32 v40, 16, v43
	v_lshrrev_b32_e32 v38, 16, v32
	;; [unrolled: 3-line block ×3, first 2 shown]
	s_wait_loadcnt 0x4
	v_lshrrev_b32_e32 v57, 16, v45
	v_or_b32_e32 v12, 0x1c0, v7
	v_lshrrev_b32_e32 v42, 16, v33
	s_wait_loadcnt 0x3
	v_lshrrev_b32_e32 v58, 16, v46
	v_lshrrev_b32_e32 v56, 16, v35
	s_wait_loadcnt 0x2
	v_lshrrev_b32_e32 v60, 16, v47
	;; [unrolled: 3-line block ×4, first 2 shown]
.LBB0_15:
	s_or_b32 exec_lo, exec_lo, s1
	v_sub_f16_e32 v0, v8, v36
	v_sub_f16_e32 v5, v10, v11
	;; [unrolled: 1-line block ×5, first 2 shown]
	v_fma_f16 v31, v8, 2.0, -v0
	v_fma_f16 v36, v10, 2.0, -v5
	v_sub_f16_e32 v39, v28, v39
	v_sub_f16_e32 v43, v30, v43
	;; [unrolled: 1-line block ×6, first 2 shown]
	v_add_nc_u32_e32 v8, 56, v7
	v_fma_f16 v27, v27, 2.0, -v11
	v_fma_f16 v51, v26, 2.0, -v29
	v_sub_f16_e32 v48, v37, v48
	v_fma_f16 v26, v9, 2.0, -v6
	v_add_nc_u32_e32 v9, 0x70, v7
	v_sub_f16_e32 v49, v41, v49
	v_add_nc_u32_e32 v10, 0xa8, v7
	v_fma_f16 v28, v28, 2.0, -v39
	v_pack_b32_f16 v0, v31, v0
	v_pack_b32_f16 v31, v36, v5
	v_add_nc_u32_e32 v5, 0xe0, v7
	v_fma_f16 v30, v30, 2.0, -v43
	v_fma_f16 v32, v32, 2.0, -v44
	;; [unrolled: 1-line block ×4, first 2 shown]
	v_lshl_add_u32 v64, v7, 2, 0
	v_add_nc_u32_e32 v67, 0x118, v7
	v_add_nc_u32_e32 v68, 0x150, v7
	;; [unrolled: 1-line block ×7, first 2 shown]
	v_fma_f16 v35, v35, 2.0, -v47
	v_lshl_add_u32 v65, v8, 2, 0
	v_fma_f16 v37, v37, 2.0, -v48
	v_lshl_add_u32 v73, v9, 2, 0
	v_pack_b32_f16 v11, v27, v11
	v_fma_f16 v41, v41, 2.0, -v49
	v_lshl_add_u32 v74, v10, 2, 0
	v_pack_b32_f16 v27, v51, v29
	v_lshl_add_u32 v75, v5, 2, 0
	v_pack_b32_f16 v28, v28, v39
	;; [unrolled: 2-line block ×5, first 2 shown]
	ds_store_b32 v64, v0
	ds_store_b32 v65, v31
	;; [unrolled: 1-line block ×8, first 2 shown]
	v_lshl_add_u32 v79, v12, 2, 0
	v_pack_b32_f16 v0, v33, v46
	v_lshl_add_u32 v80, v70, 2, 0
	v_lshl_add_u32 v81, v71, 2, 0
	;; [unrolled: 1-line block ×3, first 2 shown]
	v_cmp_gt_u32_e64 s0, 28, v7
	v_lshl_add_u32 v82, v66, 2, 0
	v_pack_b32_f16 v11, v35, v47
	v_pack_b32_f16 v27, v37, v48
	;; [unrolled: 1-line block ×3, first 2 shown]
	ds_store_b32 v79, v0
	ds_store_b32 v80, v11
	;; [unrolled: 1-line block ×4, first 2 shown]
	s_and_saveexec_b32 s1, s0
	s_cbranch_execz .LBB0_17
; %bb.16:
	v_perm_b32 v0, v6, v26, 0x5040100
	ds_store_b32 v82, v0
.LBB0_17:
	s_wait_alu 0xfffe
	s_or_b32 exec_lo, exec_lo, s1
	v_lshl_add_u32 v0, v7, 1, 0
	global_wb scope:SCOPE_SE
	s_wait_dscnt 0x0
	s_wait_kmcnt 0x0
	s_barrier_signal -1
	s_barrier_wait -1
	global_inv scope:SCOPE_SE
	ds_load_u16 v27, v0 offset:1512
	ds_load_u16 v28, v0 offset:1624
	ds_load_u16 v29, v0 offset:1736
	ds_load_u16 v30, v0 offset:1848
	ds_load_u16 v41, v0
	ds_load_u16 v43, v0 offset:112
	ds_load_u16 v44, v0 offset:224
	;; [unrolled: 1-line block ×7, first 2 shown]
	v_lshl_add_u32 v11, v12, 1, 0
	ds_load_u16 v50, v0 offset:1008
	ds_load_u16 v51, v0 offset:1120
	;; [unrolled: 1-line block ×10, first 2 shown]
	ds_load_u16 v53, v11
	ds_load_u16 v31, v0 offset:2632
	s_and_saveexec_b32 s1, s0
	s_cbranch_execz .LBB0_19
; %bb.18:
	ds_load_u16 v26, v0 offset:1344
	ds_load_u16 v6, v0 offset:2744
.LBB0_19:
	s_wait_alu 0xfffe
	s_or_b32 exec_lo, exec_lo, s1
	v_sub_f16_e32 v17, v14, v17
	v_sub_f16_e32 v20, v16, v20
	;; [unrolled: 1-line block ×5, first 2 shown]
	v_fma_f16 v14, v14, 2.0, -v17
	v_sub_f16_e32 v84, v24, v40
	v_sub_f16_e32 v55, v38, v55
	;; [unrolled: 1-line block ×8, first 2 shown]
	v_fma_f16 v16, v16, 2.0, -v20
	v_fma_f16 v19, v19, 2.0, -v22
	;; [unrolled: 1-line block ×12, first 2 shown]
	v_pack_b32_f16 v13, v14, v17
	v_pack_b32_f16 v14, v16, v20
	v_pack_b32_f16 v16, v19, v22
	v_pack_b32_f16 v17, v18, v23
	v_pack_b32_f16 v18, v21, v25
	global_wb scope:SCOPE_SE
	s_wait_dscnt 0x0
	s_barrier_signal -1
	s_barrier_wait -1
	global_inv scope:SCOPE_SE
	v_pack_b32_f16 v19, v24, v84
	v_pack_b32_f16 v20, v85, v55
	;; [unrolled: 1-line block ×7, first 2 shown]
	ds_store_b32 v64, v13
	ds_store_b32 v65, v14
	;; [unrolled: 1-line block ×12, first 2 shown]
	s_and_saveexec_b32 s1, s0
	s_cbranch_execz .LBB0_21
; %bb.20:
	v_perm_b32 v13, v40, v38, 0x5040100
	ds_store_b32 v82, v13
.LBB0_21:
	s_wait_alu 0xfffe
	s_or_b32 exec_lo, exec_lo, s1
	global_wb scope:SCOPE_SE
	s_wait_dscnt 0x0
	s_barrier_signal -1
	s_barrier_wait -1
	global_inv scope:SCOPE_SE
	ds_load_u16 v77, v0 offset:1512
	ds_load_u16 v79, v0 offset:1624
	ds_load_u16 v80, v0 offset:1736
	ds_load_u16 v81, v0 offset:1848
	ds_load_u16 v63, v0
	ds_load_u16 v64, v0 offset:112
	ds_load_u16 v65, v0 offset:224
	;; [unrolled: 1-line block ×17, first 2 shown]
	ds_load_u16 v62, v11
	ds_load_u16 v82, v0 offset:2632
	v_lshlrev_b32_e32 v24, 1, v7
	v_lshlrev_b32_e32 v23, 1, v8
	;; [unrolled: 1-line block ×12, first 2 shown]
	s_and_saveexec_b32 s1, s0
	s_cbranch_execz .LBB0_23
; %bb.22:
	ds_load_u16 v38, v0 offset:1344
	ds_load_u16 v40, v0 offset:2744
.LBB0_23:
	s_wait_alu 0xfffe
	s_or_b32 exec_lo, exec_lo, s1
	v_and_b32_e32 v55, 1, v7
	s_delay_alu instid0(VALU_DEP_1)
	v_lshlrev_b32_e32 v13, 2, v55
	v_and_or_b32 v25, 0x7c, v24, v55
	v_and_or_b32 v67, 0x1fc, v22, v55
	;; [unrolled: 1-line block ×4, first 2 shown]
	global_load_b32 v90, v13, s[8:9]
	v_lshlrev_b32_e32 v13, 1, v66
	v_and_or_b32 v66, 0xfc, v23, v55
	v_and_or_b32 v70, 0x2fc, v19, v55
	;; [unrolled: 1-line block ×8, first 2 shown]
	v_lshl_add_u32 v102, v25, 1, 0
	v_lshl_add_u32 v101, v66, 1, 0
	;; [unrolled: 1-line block ×12, first 2 shown]
	global_wb scope:SCOPE_SE
	s_wait_loadcnt_dscnt 0x0
	s_barrier_signal -1
	s_barrier_wait -1
	global_inv scope:SCOPE_SE
	v_lshrrev_b32_e32 v103, 16, v90
	s_delay_alu instid0(VALU_DEP_1)
	v_mul_f16_e32 v25, v89, v103
	v_mul_f16_e32 v78, v40, v103
	v_mul_f16_e32 v66, v77, v103
	v_mul_f16_e32 v67, v79, v103
	v_mul_f16_e32 v68, v80, v103
	v_mul_f16_e32 v69, v81, v103
	v_mul_f16_e32 v70, v88, v103
	v_mul_f16_e32 v71, v83, v103
	v_mul_f16_e32 v72, v84, v103
	v_mul_f16_e32 v73, v85, v103
	v_mul_f16_e32 v74, v86, v103
	v_mul_f16_e32 v75, v87, v103
	v_mul_f16_e32 v76, v82, v103
	v_fmac_f16_e32 v25, v39, v90
	v_fmac_f16_e32 v78, v6, v90
	;; [unrolled: 1-line block ×13, first 2 shown]
	v_sub_f16_e32 v104, v41, v25
	v_sub_f16_e32 v25, v26, v78
	;; [unrolled: 1-line block ×13, first 2 shown]
	v_fma_f16 v41, v41, 2.0, -v104
	v_fma_f16 v26, v26, 2.0, -v25
	;; [unrolled: 1-line block ×13, first 2 shown]
	ds_store_b16 v102, v41
	ds_store_b16 v102, v104 offset:4
	ds_store_b16 v101, v43
	ds_store_b16 v101, v66 offset:4
	;; [unrolled: 2-line block ×12, first 2 shown]
	s_and_saveexec_b32 s1, s0
	s_cbranch_execz .LBB0_25
; %bb.24:
	v_and_or_b32 v41, 0x57c, v13, v55
	s_delay_alu instid0(VALU_DEP_1)
	v_lshl_add_u32 v41, v41, 1, 0
	ds_store_b16 v41, v26
	ds_store_b16 v41, v25 offset:4
.LBB0_25:
	s_wait_alu 0xfffe
	s_or_b32 exec_lo, exec_lo, s1
	global_wb scope:SCOPE_SE
	s_wait_dscnt 0x0
	s_barrier_signal -1
	s_barrier_wait -1
	global_inv scope:SCOPE_SE
	ds_load_u16 v41, v0 offset:1512
	ds_load_u16 v43, v0 offset:1624
	;; [unrolled: 1-line block ×4, first 2 shown]
	ds_load_u16 v66, v0
	ds_load_u16 v67, v0 offset:112
	ds_load_u16 v68, v0 offset:224
	;; [unrolled: 1-line block ×17, first 2 shown]
	ds_load_u16 v78, v11
	ds_load_u16 v47, v0 offset:2632
	s_and_saveexec_b32 s1, s0
	s_cbranch_execz .LBB0_27
; %bb.26:
	ds_load_u16 v26, v0 offset:1344
	ds_load_u16 v25, v0 offset:2744
.LBB0_27:
	s_wait_alu 0xfffe
	s_or_b32 exec_lo, exec_lo, s1
	v_mul_f16_e32 v27, v27, v103
	v_mul_f16_e32 v39, v39, v103
	;; [unrolled: 1-line block ×5, first 2 shown]
	v_fma_f16 v27, v77, v90, -v27
	v_mul_f16_e32 v6, v6, v103
	v_mul_f16_e32 v28, v28, v103
	;; [unrolled: 1-line block ×4, first 2 shown]
	v_fma_f16 v39, v89, v90, -v39
	v_mul_f16_e32 v37, v37, v103
	v_mul_f16_e32 v36, v36, v103
	;; [unrolled: 1-line block ×4, first 2 shown]
	v_fma_f16 v34, v85, v90, -v34
	v_fma_f16 v33, v86, v90, -v33
	v_sub_f16_e32 v77, v64, v27
	v_fma_f16 v27, v82, v90, -v31
	v_fma_f16 v6, v40, v90, -v6
	;; [unrolled: 1-line block ×9, first 2 shown]
	v_sub_f16_e32 v39, v63, v39
	v_fma_f16 v40, v64, 2.0, -v77
	v_sub_f16_e32 v34, v62, v34
	v_sub_f16_e32 v33, v42, v33
	;; [unrolled: 1-line block ×5, first 2 shown]
	v_fma_f16 v31, v63, 2.0, -v39
	v_sub_f16_e32 v29, v56, v29
	v_sub_f16_e32 v30, v57, v30
	;; [unrolled: 1-line block ×6, first 2 shown]
	v_fma_f16 v6, v62, 2.0, -v34
	v_fma_f16 v62, v42, 2.0, -v33
	;; [unrolled: 1-line block ×11, first 2 shown]
	global_wb scope:SCOPE_SE
	s_wait_dscnt 0x0
	s_barrier_signal -1
	s_barrier_wait -1
	global_inv scope:SCOPE_SE
	ds_store_b16 v102, v31
	ds_store_b16 v102, v39 offset:4
	ds_store_b16 v101, v40
	ds_store_b16 v101, v77 offset:4
	;; [unrolled: 2-line block ×12, first 2 shown]
	s_and_saveexec_b32 s1, s0
	s_cbranch_execz .LBB0_29
; %bb.28:
	v_and_or_b32 v6, 0x57c, v13, v55
	s_delay_alu instid0(VALU_DEP_1)
	v_lshl_add_u32 v6, v6, 1, 0
	ds_store_b16 v6, v42
	ds_store_b16 v6, v27 offset:4
.LBB0_29:
	s_wait_alu 0xfffe
	s_or_b32 exec_lo, exec_lo, s1
	global_wb scope:SCOPE_SE
	s_wait_dscnt 0x0
	s_barrier_signal -1
	s_barrier_wait -1
	global_inv scope:SCOPE_SE
	ds_load_u16 v39, v0 offset:1512
	ds_load_u16 v40, v0 offset:1624
	;; [unrolled: 1-line block ×4, first 2 shown]
	ds_load_u16 v37, v0
	ds_load_u16 v38, v0 offset:112
	ds_load_u16 v31, v0 offset:224
	;; [unrolled: 1-line block ×17, first 2 shown]
	ds_load_u16 v11, v11
	ds_load_u16 v58, v0 offset:2632
	s_and_saveexec_b32 s1, s0
	s_cbranch_execz .LBB0_31
; %bb.30:
	ds_load_u16 v42, v0 offset:1344
	ds_load_u16 v27, v0 offset:2744
.LBB0_31:
	s_wait_alu 0xfffe
	s_or_b32 exec_lo, exec_lo, s1
	v_and_b32_e32 v54, 3, v7
	s_delay_alu instid0(VALU_DEP_1)
	v_lshlrev_b32_e32 v6, 2, v54
	v_and_or_b32 v86, 0x5f8, v12, v54
	v_and_or_b32 v22, 0x1f8, v22, v54
	;; [unrolled: 1-line block ×4, first 2 shown]
	global_load_b32 v64, v6, s[8:9] offset:8
	v_and_or_b32 v6, 0x78, v24, v54
	v_and_or_b32 v15, 0x7f8, v15, v54
	;; [unrolled: 1-line block ×8, first 2 shown]
	v_lshl_add_u32 v85, v6, 1, 0
	v_lshl_add_u32 v83, v22, 1, 0
	;; [unrolled: 1-line block ×12, first 2 shown]
	global_wb scope:SCOPE_SE
	s_wait_loadcnt_dscnt 0x0
	s_barrier_signal -1
	s_barrier_wait -1
	global_inv scope:SCOPE_SE
	v_lshrrev_b32_e32 v12, 16, v64
	s_delay_alu instid0(VALU_DEP_1)
	v_mul_f16_e32 v6, v65, v12
	v_mul_f16_e32 v14, v39, v12
	;; [unrolled: 1-line block ×13, first 2 shown]
	v_fmac_f16_e32 v6, v53, v64
	v_fmac_f16_e32 v14, v41, v64
	;; [unrolled: 1-line block ×13, first 2 shown]
	v_sub_f16_e32 v91, v66, v6
	v_sub_f16_e32 v14, v67, v14
	;; [unrolled: 1-line block ×13, first 2 shown]
	v_fma_f16 v66, v66, 2.0, -v91
	v_fma_f16 v67, v67, 2.0, -v14
	;; [unrolled: 1-line block ×12, first 2 shown]
	ds_store_b16 v85, v66
	ds_store_b16 v85, v91 offset:8
	ds_store_b16 v84, v67
	ds_store_b16 v84, v14 offset:8
	;; [unrolled: 2-line block ×12, first 2 shown]
	s_and_saveexec_b32 s1, s0
	s_cbranch_execz .LBB0_33
; %bb.32:
	v_and_or_b32 v14, 0x578, v13, v54
	v_fma_f16 v15, v26, 2.0, -v6
	s_delay_alu instid0(VALU_DEP_2)
	v_lshl_add_u32 v14, v14, 1, 0
	ds_store_b16 v14, v15
	ds_store_b16 v14, v6 offset:8
.LBB0_33:
	s_wait_alu 0xfffe
	s_or_b32 exec_lo, exec_lo, s1
	v_mul_f16_e32 v14, v53, v12
	v_mul_f16_e32 v15, v41, v12
	;; [unrolled: 1-line block ×5, first 2 shown]
	v_fma_f16 v14, v65, v64, -v14
	v_fma_f16 v15, v39, v64, -v15
	;; [unrolled: 1-line block ×3, first 2 shown]
	v_mul_f16_e32 v19, v52, v12
	v_mul_f16_e32 v20, v51, v12
	;; [unrolled: 1-line block ×7, first 2 shown]
	v_fma_f16 v17, v56, v64, -v17
	v_fma_f16 v18, v57, v64, -v18
	;; [unrolled: 1-line block ×7, first 2 shown]
	v_mul_f16_e32 v12, v25, v12
	v_sub_f16_e32 v44, v37, v14
	v_sub_f16_e32 v45, v38, v15
	v_fma_f16 v14, v55, v64, -v41
	v_fma_f16 v15, v58, v64, -v43
	;; [unrolled: 1-line block ×3, first 2 shown]
	v_sub_f16_e32 v47, v31, v16
	v_sub_f16_e32 v48, v32, v17
	;; [unrolled: 1-line block ×10, first 2 shown]
	v_fma_f16 v43, v37, 2.0, -v44
	v_fma_f16 v46, v38, 2.0, -v45
	;; [unrolled: 1-line block ×12, first 2 shown]
	v_sub_f16_e32 v11, v42, v12
	global_wb scope:SCOPE_SE
	s_wait_dscnt 0x0
	s_barrier_signal -1
	s_barrier_wait -1
	global_inv scope:SCOPE_SE
	ds_load_u16 v26, v0 offset:672
	ds_load_u16 v14, v0 offset:784
	ds_load_u16 v20, v0
	ds_load_u16 v17, v0 offset:112
	ds_load_u16 v16, v0 offset:224
	;; [unrolled: 1-line block ×22, first 2 shown]
	global_wb scope:SCOPE_SE
	s_wait_dscnt 0x0
	s_barrier_signal -1
	s_barrier_wait -1
	global_inv scope:SCOPE_SE
	ds_store_b16 v85, v43
	ds_store_b16 v85, v44 offset:8
	ds_store_b16 v84, v46
	ds_store_b16 v84, v45 offset:8
	ds_store_b16 v83, v52
	ds_store_b16 v83, v47 offset:8
	ds_store_b16 v82, v53
	ds_store_b16 v82, v48 offset:8
	ds_store_b16 v81, v55
	ds_store_b16 v81, v49 offset:8
	ds_store_b16 v80, v56
	ds_store_b16 v80, v50 offset:8
	ds_store_b16 v79, v57
	ds_store_b16 v79, v51 offset:8
	ds_store_b16 v24, v63
	ds_store_b16 v24, v58 offset:8
	ds_store_b16 v77, v64
	ds_store_b16 v77, v59 offset:8
	ds_store_b16 v23, v65
	ds_store_b16 v23, v60 offset:8
	ds_store_b16 v22, v66
	ds_store_b16 v22, v61 offset:8
	ds_store_b16 v21, v67
	ds_store_b16 v21, v62 offset:8
	s_and_saveexec_b32 s1, s0
	s_cbranch_execz .LBB0_35
; %bb.34:
	v_and_or_b32 v13, 0x578, v13, v54
	v_fma_f16 v21, v42, 2.0, -v11
	s_delay_alu instid0(VALU_DEP_2)
	v_lshl_add_u32 v13, v13, 1, 0
	ds_store_b16 v13, v21
	ds_store_b16 v13, v11 offset:8
.LBB0_35:
	s_wait_alu 0xfffe
	s_or_b32 exec_lo, exec_lo, s1
	v_and_b32_e32 v42, 7, v7
	global_wb scope:SCOPE_SE
	s_wait_dscnt 0x0
	s_barrier_signal -1
	s_barrier_wait -1
	global_inv scope:SCOPE_SE
	v_lshlrev_b32_e32 v13, 4, v42
	v_lshrrev_b32_e32 v45, 3, v7
	v_lshrrev_b32_e32 v47, 3, v8
	;; [unrolled: 1-line block ×4, first 2 shown]
	global_load_b128 v[90:93], v13, s[8:9] offset:24
	v_lshrrev_b32_e32 v50, 3, v5
	ds_load_u16 v43, v0 offset:672
	ds_load_u16 v44, v0 offset:784
	ds_load_u16 v24, v0
	ds_load_u16 v23, v0 offset:112
	ds_load_u16 v22, v0 offset:224
	;; [unrolled: 1-line block ×22, first 2 shown]
	v_mul_u32_u24_e32 v45, 40, v45
	v_mul_u32_u24_e32 v47, 40, v47
	;; [unrolled: 1-line block ×5, first 2 shown]
	v_or_b32_e32 v45, v45, v42
	v_or_b32_e32 v47, v47, v42
	;; [unrolled: 1-line block ×5, first 2 shown]
	v_lshl_add_u32 v51, v45, 1, 0
	v_lshl_add_u32 v50, v47, 1, 0
	;; [unrolled: 1-line block ×5, first 2 shown]
	global_wb scope:SCOPE_SE
	s_wait_loadcnt_dscnt 0x0
	s_barrier_signal -1
	s_barrier_wait -1
	global_inv scope:SCOPE_SE
	v_cmp_gt_u32_e64 s0, 32, v7
	v_lshrrev_b32_e32 v42, 16, v91
	v_lshrrev_b32_e32 v55, 16, v92
	;; [unrolled: 1-line block ×4, first 2 shown]
	s_delay_alu instid0(VALU_DEP_4) | instskip(NEXT) | instid1(VALU_DEP_4)
	v_mul_f16_e32 v83, v72, v42
	v_mul_f16_e32 v85, v71, v55
	s_delay_alu instid0(VALU_DEP_4) | instskip(NEXT) | instid1(VALU_DEP_4)
	v_mul_f16_e32 v82, v70, v47
	v_mul_f16_e32 v86, v78, v79
	;; [unrolled: 1-line block ×29, first 2 shown]
	v_fmac_f16_e32 v83, v41, v91
	v_fmac_f16_e32 v85, v38, v92
	v_mul_f16_e32 v81, v41, v42
	v_fmac_f16_e32 v82, v39, v90
	v_fmac_f16_e32 v86, v40, v93
	v_mul_f16_e32 v101, v35, v42
	v_mul_f16_e32 v103, v37, v79
	;; [unrolled: 1-line block ×6, first 2 shown]
	v_fmac_f16_e32 v76, v26, v90
	v_fmac_f16_e32 v74, v35, v91
	;; [unrolled: 1-line block ×10, first 2 shown]
	v_mul_f16_e32 v107, v34, v79
	v_mul_f16_e32 v114, v29, v79
	v_fmac_f16_e32 v64, v18, v90
	v_fmac_f16_e32 v65, v27, v93
	;; [unrolled: 1-line block ×6, first 2 shown]
	v_fma_f16 v88, v70, v90, -v80
	v_fma_f16 v87, v71, v92, -v84
	;; [unrolled: 1-line block ×3, first 2 shown]
	v_add_f16_e32 v18, v83, v85
	v_fma_f16 v89, v72, v91, -v81
	v_add_f16_e32 v28, v82, v86
	v_fma_f16 v78, v43, v90, -v100
	v_fma_f16 v79, v54, v91, -v101
	;; [unrolled: 1-line block ×10, first 2 shown]
	v_sub_f16_e32 v19, v82, v83
	v_sub_f16_e32 v27, v86, v85
	;; [unrolled: 1-line block ×4, first 2 shown]
	v_add_f16_e32 v31, v17, v76
	v_add_f16_e32 v32, v74, v75
	v_sub_f16_e32 v35, v76, v74
	v_sub_f16_e32 v36, v77, v75
	v_add_f16_e32 v37, v76, v77
	v_sub_f16_e32 v38, v74, v76
	v_sub_f16_e32 v39, v75, v77
	v_add_f16_e32 v41, v66, v67
	v_add_f16_e32 v91, v68, v69
	v_add_f16_e32 v95, v61, v63
	v_fma_f16 v70, v44, v90, -v104
	v_fma_f16 v73, v73, v93, -v107
	;; [unrolled: 1-line block ×6, first 2 shown]
	v_add_f16_e32 v14, v20, v82
	v_add_f16_e32 v100, v64, v65
	;; [unrolled: 1-line block ×4, first 2 shown]
	v_sub_f16_e32 v25, v88, v84
	v_sub_f16_e32 v92, v66, v68
	;; [unrolled: 1-line block ×3, first 2 shown]
	v_fma_f16 v112, -0.5, v18, v20
	v_sub_f16_e32 v26, v89, v87
	v_add_f16_e32 v94, v15, v64
	v_fmac_f16_e32 v20, -0.5, v28
	v_sub_f16_e32 v33, v78, v81
	v_sub_f16_e32 v34, v79, v80
	v_add_f16_e32 v40, v16, v68
	v_sub_f16_e32 v43, v71, v72
	v_sub_f16_e32 v44, v68, v66
	;; [unrolled: 1-line block ×8, first 2 shown]
	v_add_f16_e32 v103, v12, v53
	v_add_f16_e32 v27, v19, v27
	;; [unrolled: 1-line block ×4, first 2 shown]
	v_fma_f16 v29, -0.5, v32, v17
	v_add_f16_e32 v30, v35, v36
	v_fmac_f16_e32 v17, -0.5, v37
	v_add_f16_e32 v31, v38, v39
	v_fma_f16 v35, -0.5, v41, v16
	v_fmac_f16_e32 v16, -0.5, v91
	v_fma_f16 v39, -0.5, v95, v15
	v_sub_f16_e32 v42, v70, v73
	v_sub_f16_e32 v97, v59, v60
	;; [unrolled: 1-line block ×4, first 2 shown]
	v_add_f16_e32 v14, v14, v83
	v_fmac_f16_e32 v15, -0.5, v100
	v_fma_f16 v18, -0.5, v104, v12
	v_fmac_f16_e32 v12, -0.5, v109
	v_add_f16_e32 v37, v92, v93
	v_fmamk_f16 v93, v25, 0xbb9c, v112
	v_add_f16_e32 v38, v94, v61
	v_fmamk_f16 v94, v26, 0x3b9c, v20
	v_fmac_f16_e32 v20, 0xbb9c, v26
	v_add_f16_e32 v32, v40, v66
	v_add_f16_e32 v36, v44, v90
	;; [unrolled: 1-line block ×5, first 2 shown]
	v_fmac_f16_e32 v112, 0x3b9c, v25
	v_fmamk_f16 v98, v33, 0xbb9c, v29
	v_fmac_f16_e32 v29, 0x3b9c, v33
	v_fmamk_f16 v99, v34, 0x3b9c, v17
	;; [unrolled: 2-line block ×4, first 2 shown]
	v_fmac_f16_e32 v39, 0x3b9c, v96
	v_sub_f16_e32 v107, v53, v47
	v_sub_f16_e32 v108, v55, v52
	;; [unrolled: 1-line block ×4, first 2 shown]
	v_add_f16_e32 v92, v14, v85
	v_add_f16_e32 v95, v19, v75
	v_fmamk_f16 v100, v42, 0xbb9c, v35
	v_fmac_f16_e32 v35, 0x3b9c, v42
	v_fmamk_f16 v103, v97, 0x3b9c, v15
	v_fmac_f16_e32 v15, 0xbb9c, v97
	;; [unrolled: 2-line block ×4, first 2 shown]
	v_fmac_f16_e32 v93, 0xb8b4, v26
	v_fmac_f16_e32 v94, 0xb8b4, v25
	;; [unrolled: 1-line block ×3, first 2 shown]
	v_add_f16_e32 v32, v32, v67
	v_add_f16_e32 v38, v38, v63
	;; [unrolled: 1-line block ×3, first 2 shown]
	v_fmac_f16_e32 v112, 0x38b4, v26
	v_fmac_f16_e32 v29, 0x38b4, v34
	;; [unrolled: 1-line block ×5, first 2 shown]
	v_add_f16_e32 v90, v107, v108
	v_add_f16_e32 v91, v110, v111
	;; [unrolled: 1-line block ×3, first 2 shown]
	v_fmac_f16_e32 v98, 0xb8b4, v34
	v_fmac_f16_e32 v99, 0xb8b4, v33
	;; [unrolled: 1-line block ×15, first 2 shown]
	v_add_f16_e32 v25, v95, v77
	v_add_f16_e32 v26, v32, v69
	v_add_f16_e32 v32, v38, v65
	v_add_f16_e32 v33, v44, v55
	v_fmac_f16_e32 v112, 0x34f2, v27
	v_fmac_f16_e32 v29, 0x34f2, v30
	;; [unrolled: 1-line block ×17, first 2 shown]
	ds_store_b16 v51, v92
	ds_store_b16 v51, v93 offset:16
	ds_store_b16 v51, v94 offset:32
	ds_store_b16 v51, v20 offset:48
	ds_store_b16 v51, v112 offset:64
	ds_store_b16 v50, v25
	ds_store_b16 v50, v98 offset:16
	ds_store_b16 v50, v99 offset:32
	ds_store_b16 v50, v17 offset:48
	ds_store_b16 v50, v29 offset:64
	;; [unrolled: 5-line block ×5, first 2 shown]
	global_wb scope:SCOPE_SE
	s_wait_dscnt 0x0
	s_barrier_signal -1
	s_barrier_wait -1
	global_inv scope:SCOPE_SE
	ds_load_u16 v20, v0
	ds_load_u16 v16, v0 offset:112
	ds_load_u16 v32, v0 offset:512
	;; [unrolled: 1-line block ×20, first 2 shown]
                                        ; implicit-def: $vgpr35
                                        ; implicit-def: $vgpr37
	s_and_saveexec_b32 s1, s0
	s_cbranch_execz .LBB0_37
; %bb.36:
	ds_load_u16 v14, v0 offset:336
	ds_load_u16 v19, v0 offset:736
	;; [unrolled: 1-line block ×7, first 2 shown]
.LBB0_37:
	s_wait_alu 0xfffe
	s_or_b32 exec_lo, exec_lo, s1
	v_add_f16_e32 v15, v89, v87
	v_add_f16_e32 v90, v24, v88
	v_sub_f16_e32 v82, v82, v86
	v_sub_f16_e32 v83, v83, v85
	;; [unrolled: 1-line block ×3, first 2 shown]
	v_fma_f16 v86, -0.5, v15, v24
	v_sub_f16_e32 v15, v84, v87
	v_add_f16_e32 v91, v88, v84
	v_sub_f16_e32 v88, v89, v88
	v_add_f16_e32 v89, v90, v89
	v_fmamk_f16 v90, v82, 0x3b9c, v86
	v_sub_f16_e32 v92, v87, v84
	v_add_f16_e32 v15, v85, v15
	v_fmac_f16_e32 v86, 0xbb9c, v82
	v_add_f16_e32 v85, v89, v87
	v_fmac_f16_e32 v90, 0x38b4, v83
	v_add_f16_e32 v89, v79, v80
	v_fmac_f16_e32 v24, -0.5, v91
	v_fmac_f16_e32 v86, 0xb8b4, v83
	v_add_f16_e32 v84, v85, v84
	v_add_f16_e32 v85, v88, v92
	;; [unrolled: 1-line block ×3, first 2 shown]
	v_fmac_f16_e32 v90, 0x34f2, v15
	v_fma_f16 v89, -0.5, v89, v23
	v_sub_f16_e32 v76, v76, v77
	v_fmac_f16_e32 v86, 0x34f2, v15
	v_add_f16_e32 v15, v88, v79
	v_fmamk_f16 v87, v83, 0xbb9c, v24
	v_fmac_f16_e32 v24, 0x3b9c, v83
	v_fmamk_f16 v77, v76, 0x3b9c, v89
	v_sub_f16_e32 v74, v74, v75
	v_sub_f16_e32 v75, v78, v79
	;; [unrolled: 1-line block ×3, first 2 shown]
	v_add_f16_e32 v88, v78, v81
	v_add_f16_e32 v15, v15, v80
	v_fmac_f16_e32 v89, 0xbb9c, v76
	v_fmac_f16_e32 v87, 0x38b4, v82
	v_fmac_f16_e32 v24, 0xb8b4, v82
	v_fmac_f16_e32 v77, 0x38b4, v74
	v_add_f16_e32 v75, v75, v83
	v_fmac_f16_e32 v23, -0.5, v88
	v_add_f16_e32 v82, v15, v81
	v_sub_f16_e32 v15, v79, v78
	v_sub_f16_e32 v78, v80, v81
	v_fmac_f16_e32 v89, 0xb8b4, v74
	v_add_f16_e32 v79, v22, v70
	v_add_f16_e32 v80, v71, v72
	v_fmac_f16_e32 v77, 0x34f2, v75
	v_fmamk_f16 v83, v74, 0xbb9c, v23
	v_add_f16_e32 v15, v15, v78
	v_fmac_f16_e32 v23, 0x3b9c, v74
	v_add_f16_e32 v74, v79, v71
	v_fma_f16 v78, -0.5, v80, v22
	v_sub_f16_e32 v68, v68, v69
	v_fmac_f16_e32 v89, 0x34f2, v75
	v_add_f16_e32 v75, v70, v73
	v_fmac_f16_e32 v83, 0x38b4, v76
	v_fmac_f16_e32 v23, 0xb8b4, v76
	v_add_f16_e32 v69, v74, v72
	v_fmamk_f16 v74, v68, 0x3b9c, v78
	v_sub_f16_e32 v66, v66, v67
	v_sub_f16_e32 v67, v70, v71
	;; [unrolled: 1-line block ×3, first 2 shown]
	v_fmac_f16_e32 v22, -0.5, v75
	v_fmac_f16_e32 v78, 0xbb9c, v68
	v_sub_f16_e32 v70, v71, v70
	v_sub_f16_e32 v71, v72, v73
	v_add_f16_e32 v72, v59, v60
	v_fmac_f16_e32 v83, 0x34f2, v15
	v_fmac_f16_e32 v23, 0x34f2, v15
	;; [unrolled: 1-line block ×3, first 2 shown]
	v_add_f16_e32 v15, v67, v76
	v_fmamk_f16 v67, v66, 0xbb9c, v22
	v_fmac_f16_e32 v78, 0xb8b4, v66
	v_add_f16_e32 v70, v70, v71
	v_fmac_f16_e32 v22, 0x3b9c, v66
	v_add_f16_e32 v66, v21, v46
	v_fma_f16 v71, -0.5, v72, v21
	v_sub_f16_e32 v64, v64, v65
	v_fmac_f16_e32 v74, 0x34f2, v15
	v_fmac_f16_e32 v67, 0x38b4, v68
	;; [unrolled: 1-line block ×4, first 2 shown]
	v_add_f16_e32 v15, v66, v59
	v_fmamk_f16 v65, v64, 0x3b9c, v71
	v_sub_f16_e32 v61, v61, v63
	v_sub_f16_e32 v63, v46, v59
	;; [unrolled: 1-line block ×3, first 2 shown]
	v_fmac_f16_e32 v71, 0xbb9c, v64
	v_add_f16_e32 v68, v46, v62
	v_add_f16_e32 v15, v15, v60
	v_fmac_f16_e32 v65, 0x38b4, v61
	v_add_f16_e32 v63, v63, v66
	v_fmac_f16_e32 v71, 0xb8b4, v61
	v_fmac_f16_e32 v21, -0.5, v68
	v_sub_f16_e32 v59, v59, v46
	v_sub_f16_e32 v60, v60, v62
	v_add_f16_e32 v66, v15, v62
	v_fmac_f16_e32 v65, 0x34f2, v63
	v_fmac_f16_e32 v71, 0x34f2, v63
	v_fmamk_f16 v63, v61, 0xbb9c, v21
	v_add_f16_e32 v15, v57, v58
	v_fmac_f16_e32 v21, 0x3b9c, v61
	v_add_f16_e32 v61, v13, v56
	v_sub_f16_e32 v53, v53, v55
	v_add_f16_e32 v55, v59, v60
	v_add_f16_e32 v60, v56, v54
	v_fma_f16 v46, -0.5, v15, v13
	v_fmac_f16_e32 v63, 0x38b4, v64
	v_fmac_f16_e32 v21, 0xb8b4, v64
	v_add_f16_e32 v59, v61, v57
	v_sub_f16_e32 v52, v47, v52
	v_fmac_f16_e32 v13, -0.5, v60
	v_fmamk_f16 v15, v53, 0x3b9c, v46
	v_fmac_f16_e32 v63, 0x34f2, v55
	v_fmac_f16_e32 v21, 0x34f2, v55
	v_add_f16_e32 v55, v59, v58
	v_sub_f16_e32 v59, v56, v57
	v_sub_f16_e32 v60, v54, v58
	v_fmac_f16_e32 v46, 0xbb9c, v53
	v_fmamk_f16 v47, v52, 0xbb9c, v13
	v_sub_f16_e32 v56, v57, v56
	v_sub_f16_e32 v57, v58, v54
	v_fmac_f16_e32 v13, 0x3b9c, v52
	v_fmac_f16_e32 v15, 0x38b4, v52
	v_add_f16_e32 v58, v59, v60
	v_fmac_f16_e32 v46, 0xb8b4, v52
	v_fmac_f16_e32 v47, 0x38b4, v53
	v_add_f16_e32 v52, v56, v57
	v_fmac_f16_e32 v13, 0xb8b4, v53
	v_fmac_f16_e32 v87, 0x34f2, v85
	;; [unrolled: 1-line block ×3, first 2 shown]
	v_add_f16_e32 v69, v69, v73
	v_fmac_f16_e32 v67, 0x34f2, v70
	v_fmac_f16_e32 v22, 0x34f2, v70
	v_add_f16_e32 v53, v55, v54
	v_fmac_f16_e32 v15, 0x34f2, v58
	v_fmac_f16_e32 v46, 0x34f2, v58
	;; [unrolled: 1-line block ×4, first 2 shown]
	global_wb scope:SCOPE_SE
	s_wait_dscnt 0x0
	s_barrier_signal -1
	s_barrier_wait -1
	global_inv scope:SCOPE_SE
	ds_store_b16 v51, v84
	ds_store_b16 v51, v90 offset:16
	ds_store_b16 v51, v87 offset:32
	ds_store_b16 v51, v24 offset:48
	ds_store_b16 v51, v86 offset:64
	ds_store_b16 v50, v82
	ds_store_b16 v50, v77 offset:16
	ds_store_b16 v50, v83 offset:32
	ds_store_b16 v50, v23 offset:48
	ds_store_b16 v50, v89 offset:64
	;; [unrolled: 5-line block ×5, first 2 shown]
	global_wb scope:SCOPE_SE
	s_wait_dscnt 0x0
	s_barrier_signal -1
	s_barrier_wait -1
	global_inv scope:SCOPE_SE
	ds_load_u16 v23, v0
	ds_load_u16 v22, v0 offset:112
	ds_load_u16 v57, v0 offset:512
	;; [unrolled: 1-line block ×20, first 2 shown]
                                        ; implicit-def: $vgpr59
                                        ; implicit-def: $vgpr62
	s_and_saveexec_b32 s1, s0
	s_cbranch_execz .LBB0_39
; %bb.38:
	ds_load_u16 v15, v0 offset:336
	ds_load_u16 v47, v0 offset:736
	;; [unrolled: 1-line block ×7, first 2 shown]
.LBB0_39:
	s_wait_alu 0xfffe
	s_or_b32 exec_lo, exec_lo, s1
	v_subrev_nc_u32_e32 v45, 40, v7
	v_cmp_gt_u32_e64 s1, 40, v7
	v_dual_mov_b32 v49, 0 :: v_dual_and_b32 v50, 0xff, v8
	v_and_b32_e32 v70, 0xff, v9
	v_and_b32_e32 v71, 0xff, v10
	s_wait_alu 0xf1ff
	v_cndmask_b32_e64 v45, v45, v7, s1
	v_mul_lo_u16 v50, 0xcd, v50
	v_mul_lo_u16 v70, 0xcd, v70
	s_delay_alu instid0(VALU_DEP_3) | instskip(SKIP_1) | instid1(VALU_DEP_4)
	v_mul_i32_i24_e32 v48, 6, v45
	v_lshlrev_b32_e32 v45, 1, v45
	v_lshrrev_b16 v50, 13, v50
	s_delay_alu instid0(VALU_DEP_3) | instskip(NEXT) | instid1(VALU_DEP_1)
	v_lshlrev_b64_e32 v[48:49], 2, v[48:49]
	v_add_co_u32 v48, s1, s8, v48
	s_wait_alu 0xf1ff
	s_delay_alu instid0(VALU_DEP_2)
	v_add_co_ci_u32_e64 v49, s1, s9, v49, s1
	v_cmp_lt_u32_e64 s1, 39, v7
	s_clause 0x1
	global_load_b128 v[83:86], v[48:49], off offset:152
	global_load_b64 v[72:73], v[48:49], off offset:168
	v_lshrrev_b16 v49, 13, v70
	v_mul_lo_u16 v70, 0xcd, v71
	v_mul_lo_u16 v48, v50, 40
	v_and_b32_e32 v50, 0xffff, v50
	s_delay_alu instid0(VALU_DEP_4) | instskip(NEXT) | instid1(VALU_DEP_4)
	v_mul_lo_u16 v71, v49, 40
	v_lshrrev_b16 v70, 13, v70
	s_delay_alu instid0(VALU_DEP_4)
	v_sub_nc_u16 v48, v8, v48
	v_and_b32_e32 v49, 0xffff, v49
	v_mul_u32_u24_e32 v50, 0x230, v50
	v_sub_nc_u16 v71, v9, v71
	v_mul_lo_u16 v70, v70, 40
	v_and_b32_e32 v48, 0xff, v48
	s_delay_alu instid0(VALU_DEP_3) | instskip(NEXT) | instid1(VALU_DEP_3)
	v_and_b32_e32 v71, 0xff, v71
	v_sub_nc_u16 v70, v10, v70
	s_delay_alu instid0(VALU_DEP_3) | instskip(SKIP_1) | instid1(VALU_DEP_4)
	v_mul_u32_u24_e32 v74, 6, v48
	v_lshlrev_b32_e32 v48, 1, v48
	v_mul_u32_u24_e32 v75, 6, v71
	s_delay_alu instid0(VALU_DEP_4) | instskip(NEXT) | instid1(VALU_DEP_4)
	v_and_b32_e32 v70, 0xff, v70
	v_lshlrev_b32_e32 v74, 2, v74
	v_lshlrev_b32_e32 v71, 1, v71
	v_add3_u32 v50, 0, v50, v48
	v_lshlrev_b32_e32 v75, 2, v75
	v_mul_u32_u24_e32 v76, 6, v70
	s_clause 0x2
	global_load_b128 v[88:91], v74, s[8:9] offset:152
	global_load_b64 v[100:101], v74, s[8:9] offset:168
	global_load_b128 v[92:95], v75, s[8:9] offset:152
	v_lshlrev_b32_e32 v74, 2, v76
	s_clause 0x2
	global_load_b64 v[102:103], v75, s[8:9] offset:168
	global_load_b128 v[96:99], v74, s[8:9] offset:152
	global_load_b64 v[104:105], v74, s[8:9] offset:168
	s_wait_alu 0xf1ff
	v_cndmask_b32_e64 v74, 0, 0x230, s1
	v_mul_u32_u24_e32 v75, 0x230, v49
	global_wb scope:SCOPE_SE
	s_wait_loadcnt_dscnt 0x0
	s_barrier_signal -1
	s_barrier_wait -1
	v_add3_u32 v49, 0, v74, v45
	v_lshl_add_u32 v45, v70, 1, 0
	v_add3_u32 v48, 0, v75, v71
	global_inv scope:SCOPE_SE
	v_lshrrev_b32_e32 v70, 16, v83
	v_lshrrev_b32_e32 v75, 16, v84
	;; [unrolled: 1-line block ×6, first 2 shown]
	v_mul_f16_e32 v74, v66, v70
	v_mul_f16_e32 v70, v41, v70
	;; [unrolled: 1-line block ×12, first 2 shown]
	v_fmac_f16_e32 v74, v41, v83
	v_fma_f16 v83, v66, v83, -v70
	v_fmac_f16_e32 v71, v39, v84
	v_fma_f16 v84, v64, v84, -v87
	;; [unrolled: 2-line block ×6, first 2 shown]
	v_lshrrev_b32_e32 v39, 16, v88
	v_lshrrev_b32_e32 v40, 16, v89
	;; [unrolled: 1-line block ×15, first 2 shown]
	v_add_f16_e32 v113, v74, v81
	v_sub_f16_e32 v114, v83, v87
	v_add_f16_e32 v115, v71, v79
	v_sub_f16_e32 v116, v84, v86
	v_sub_f16_e32 v118, v85, v82
	v_mul_f16_e32 v72, v57, v39
	v_mul_f16_e32 v70, v55, v40
	;; [unrolled: 1-line block ×11, first 2 shown]
	v_mul_f16_e64 v128, v27, v68
	v_mul_f16_e32 v68, v60, v69
	v_mul_f16_e64 v129, v34, v69
	v_mul_f16_e32 v69, v56, v106
	v_lshrrev_b32_e32 v108, 16, v97
	v_lshrrev_b32_e32 v109, 16, v98
	v_add_f16_e32 v117, v75, v77
	v_mul_f16_e32 v119, v32, v39
	v_mul_f16_e32 v120, v30, v40
	;; [unrolled: 1-line block ×12, first 2 shown]
	v_add_f16_e64 v130, v115, v113
	v_add_f16_e64 v132, v118, v116
	v_sub_f16_e64 v133, v118, v116
	v_sub_f16_e32 v116, v116, v114
	v_fmac_f16_e32 v72, v32, v88
	v_fmac_f16_e32 v70, v30, v89
	;; [unrolled: 1-line block ×4, first 2 shown]
	v_lshrrev_b32_e32 v111, 16, v104
	v_mul_f16_e32 v106, v31, v106
	v_fmac_f16_e32 v65, v26, v92
	v_fmac_f16_e32 v64, v36, v93
	;; [unrolled: 1-line block ×4, first 2 shown]
	v_mul_f16_e32 v107, v19, v107
	v_mul_f16_e32 v40, v13, v108
	;; [unrolled: 1-line block ×5, first 2 shown]
	v_sub_f16_e64 v131, v115, v113
	v_sub_f16_e32 v113, v113, v117
	v_sub_f16_e32 v115, v117, v115
	;; [unrolled: 1-line block ×3, first 2 shown]
	v_fma_f16 v55, v55, v89, -v120
	v_fmac_f16_e32 v73, v29, v90
	v_fma_f16 v30, v54, v90, -v121
	v_fmac_f16_e32 v76, v28, v91
	v_fma_f16 v53, v53, v91, -v122
	v_fma_f16 v54, v24, v100, -v123
	v_fmac_f16_e32 v66, v33, v94
	v_fmac_f16_e32 v39, v19, v96
	;; [unrolled: 1-line block ×3, first 2 shown]
	v_fma_f16 v6, v11, v99, -v110
	v_fmac_f16_e32 v44, v35, v105
	v_add_f16_e64 v11, v117, v130
	v_mul_f16_e64 v19, 0x3846, v133
	v_mul_f16_e32 v31, 0xbb00, v116
	v_add_f16_e32 v33, v72, v80
	v_add_f16_e32 v35, v70, v78
	v_fma_f16 v32, v57, v88, -v119
	v_fma_f16 v57, v63, v101, -v124
	v_mul_f16_e32 v43, v62, v111
	v_mul_f16_e32 v111, v37, v111
	v_fmac_f16_e32 v67, v27, v95
	v_fma_f16 v26, v61, v93, -v126
	v_fma_f16 v24, v58, v94, -v127
	;; [unrolled: 1-line block ×4, first 2 shown]
	v_mul_f16_e32 v109, v18, v109
	v_fma_f16 v25, v51, v92, -v125
	v_fma_f16 v29, v56, v103, -v106
	v_add_f16_e32 v58, v65, v69
	v_add_f16_e32 v60, v64, v68
	v_fmac_f16_e32 v40, v12, v97
	v_fma_f16 v51, v13, v97, -v108
	v_fmac_f16_e32 v41, v18, v98
	v_add_f16_e64 v12, v132, v114
	v_mul_f16_e32 v13, 0x3a52, v113
	v_mul_f16_e32 v18, 0x2b26, v115
	v_sub_f16_e32 v36, v55, v54
	v_add_f16_e32 v52, v73, v76
	v_sub_f16_e32 v56, v53, v30
	v_add_f16_e32 v20, v20, v11
	v_fmamk_f16 v89, v118, 0xb574, v19
	v_fma_f16 v19, v116, 0xbb00, -v19
	v_fma_f16 v31, v118, 0x3574, -v31
	v_add_f16_e32 v90, v35, v33
	v_sub_f16_e32 v34, v32, v57
	v_fmac_f16_e32 v43, v37, v104
	v_fma_f16 v37, v62, v104, -v111
	v_add_f16_e32 v62, v66, v67
	v_sub_f16_e32 v61, v26, v28
	v_sub_f16_e32 v63, v27, v24
	v_fma_f16 v38, v46, v98, -v109
	v_fma_f16 v46, v59, v105, -v112
	v_sub_f16_e32 v59, v25, v29
	v_add_f16_e32 v94, v60, v58
	v_fmamk_f16 v88, v115, 0x2b26, v13
	v_fma_f16 v18, v131, 0x39e0, -v18
	v_fma_f16 v13, v131, 0xb9e0, -v13
	v_sub_f16_e32 v91, v35, v33
	v_sub_f16_e32 v33, v33, v52
	;; [unrolled: 1-line block ×4, first 2 shown]
	v_fmamk_f16 v11, v11, 0xbcab, v20
	v_fmac_f16_e32 v89, 0xb70e, v12
	v_fmac_f16_e32 v19, 0xb70e, v12
	;; [unrolled: 1-line block ×3, first 2 shown]
	v_add_f16_e32 v12, v52, v90
	v_add_f16_e32 v92, v56, v36
	v_sub_f16_e32 v36, v36, v34
	v_sub_f16_e32 v95, v60, v58
	;; [unrolled: 1-line block ×4, first 2 shown]
	v_fma_f16 v47, v47, v96, -v107
	v_sub_f16_e32 v58, v58, v62
	v_add_f16_e32 v96, v63, v61
	v_sub_f16_e32 v61, v61, v59
	v_add_f16_e32 v62, v62, v94
	v_sub_f16_e32 v56, v34, v56
	v_mul_f16_e32 v33, 0x3a52, v33
	v_mul_f16_e32 v52, 0x2b26, v35
	;; [unrolled: 1-line block ×3, first 2 shown]
	v_add_f16_e32 v88, v88, v11
	v_add_f16_e32 v18, v18, v11
	;; [unrolled: 1-line block ×5, first 2 shown]
	v_mul_f16_e32 v92, 0xbb00, v36
	v_mul_f16_e32 v93, 0x2b26, v60
	v_sub_f16_e32 v63, v59, v63
	v_mul_f16_e32 v94, 0x3846, v97
	v_add_f16_e32 v59, v96, v59
	v_mul_f16_e32 v58, 0x3a52, v58
	v_mul_f16_e32 v96, 0xbb00, v61
	v_add_f16_e32 v17, v17, v62
	v_fmamk_f16 v16, v35, 0x2b26, v33
	v_fma_f16 v35, v91, 0x39e0, -v52
	v_fmamk_f16 v52, v56, 0xb574, v90
	v_fmamk_f16 v12, v12, 0xbcab, v13
	v_fma_f16 v33, v91, 0xb9e0, -v33
	v_fma_f16 v56, v56, 0x3574, -v92
	v_add_f16_e32 v92, v89, v88
	v_fma_f16 v36, v36, 0xbb00, -v90
	v_fma_f16 v90, v95, 0x39e0, -v93
	v_add_f16_e32 v93, v31, v11
	v_fmamk_f16 v91, v63, 0xb574, v94
	v_fma_f16 v61, v61, 0xbb00, -v94
	v_sub_f16_e32 v94, v18, v19
	v_fmamk_f16 v60, v60, 0x2b26, v58
	v_fma_f16 v58, v95, 0xb9e0, -v58
	v_fma_f16 v63, v63, 0x3574, -v96
	v_add_f16_e32 v18, v19, v18
	v_sub_f16_e32 v11, v11, v31
	v_fmamk_f16 v31, v62, 0xbcab, v17
	v_sub_f16_e32 v19, v88, v89
	v_fmac_f16_e32 v52, 0xb70e, v34
	ds_store_b16 v49, v20
	ds_store_b16 v49, v92 offset:80
	ds_store_b16 v49, v93 offset:160
	;; [unrolled: 1-line block ×6, first 2 shown]
	v_add_f16_e32 v11, v16, v12
	v_fmac_f16_e32 v56, 0xb70e, v34
	v_add_f16_e32 v16, v35, v12
	v_add_f16_e32 v12, v33, v12
	v_fmac_f16_e32 v36, 0xb70e, v34
	v_fmac_f16_e32 v91, 0xb70e, v59
	;; [unrolled: 1-line block ×4, first 2 shown]
	v_add_f16_e32 v18, v60, v31
	v_add_f16_e32 v19, v90, v31
	;; [unrolled: 1-line block ×5, first 2 shown]
	v_sub_f16_e32 v34, v16, v36
	v_add_f16_e32 v16, v36, v16
	v_sub_f16_e32 v12, v12, v56
	v_sub_f16_e32 v11, v11, v52
	v_add_f16_e32 v35, v91, v18
	v_add_f16_e32 v36, v63, v20
	v_sub_f16_e32 v52, v19, v61
	v_add_f16_e32 v19, v61, v19
	v_sub_f16_e32 v20, v20, v63
	v_sub_f16_e32 v18, v18, v91
	ds_store_b16 v50, v13
	ds_store_b16 v50, v31 offset:80
	ds_store_b16 v50, v33 offset:160
	;; [unrolled: 1-line block ×6, first 2 shown]
	ds_store_b16 v48, v17
	ds_store_b16 v48, v35 offset:80
	ds_store_b16 v48, v36 offset:160
	;; [unrolled: 1-line block ×6, first 2 shown]
	s_and_saveexec_b32 s1, s0
	s_cbranch_execz .LBB0_41
; %bb.40:
	v_add_f16_e32 v11, v39, v44
	v_add_f16_e32 v12, v40, v43
	;; [unrolled: 1-line block ×3, first 2 shown]
	v_sub_f16_e32 v17, v6, v38
	v_sub_f16_e32 v19, v51, v37
	v_sub_f16_e32 v16, v47, v46
	v_add_f16_e32 v18, v12, v11
	v_sub_f16_e32 v20, v11, v13
	v_sub_f16_e32 v31, v13, v12
	;; [unrolled: 1-line block ×4, first 2 shown]
	v_add_f16_e32 v13, v13, v18
	v_sub_f16_e32 v18, v17, v19
	v_add_f16_e32 v17, v17, v19
	v_sub_f16_e32 v19, v19, v16
	v_mul_f16_e32 v12, 0x3a52, v20
	v_add_f16_e32 v14, v14, v13
	v_mul_f16_e32 v18, 0x3846, v18
	v_add_f16_e32 v16, v17, v16
	v_mul_f16_e32 v20, 0xbb00, v19
	v_fmamk_f16 v17, v31, 0x2b26, v12
	v_mul_f16_e32 v31, 0x2b26, v31
	v_fmamk_f16 v13, v13, 0xbcab, v14
	v_fmamk_f16 v34, v33, 0xb574, v18
	v_fma_f16 v12, v11, 0xb9e0, -v12
	v_fma_f16 v20, v33, 0x3574, -v20
	;; [unrolled: 1-line block ×4, first 2 shown]
	v_add_f16_e32 v17, v17, v13
	v_fmac_f16_e32 v34, 0xb70e, v16
	v_add_f16_e32 v12, v12, v13
	v_fmac_f16_e32 v20, 0xb70e, v16
	v_fmac_f16_e32 v18, 0xb70e, v16
	v_add_f16_e32 v11, v11, v13
	v_sub_f16_e32 v13, v17, v34
	v_add_f16_e32 v17, v34, v17
	v_sub_f16_e32 v16, v12, v20
	;; [unrolled: 2-line block ×3, first 2 shown]
	v_add_f16_e32 v11, v18, v11
	ds_store_b16 v45, v14 offset:2240
	ds_store_b16 v45, v17 offset:2320
	;; [unrolled: 1-line block ×7, first 2 shown]
.LBB0_41:
	s_wait_alu 0xfffe
	s_or_b32 exec_lo, exec_lo, s1
	v_add_f16_e32 v11, v83, v87
	v_add_f16_e32 v12, v84, v86
	v_sub_f16_e32 v13, v74, v81
	v_add_f16_e32 v14, v82, v85
	v_sub_f16_e32 v16, v71, v79
	v_sub_f16_e32 v17, v77, v75
	v_add_f16_e32 v18, v12, v11
	v_sub_f16_e32 v19, v12, v11
	v_sub_f16_e32 v11, v11, v14
	;; [unrolled: 1-line block ×3, first 2 shown]
	v_add_f16_e32 v20, v17, v16
	v_add_f16_e32 v14, v14, v18
	v_sub_f16_e32 v18, v17, v16
	v_sub_f16_e32 v16, v16, v13
	;; [unrolled: 1-line block ×3, first 2 shown]
	v_add_f16_e32 v13, v20, v13
	v_add_f16_e32 v52, v23, v14
	v_mul_f16_e32 v11, 0x3a52, v11
	v_mul_f16_e32 v20, 0x2b26, v12
	;; [unrolled: 1-line block ×4, first 2 shown]
	v_fmamk_f16 v14, v14, 0xbcab, v52
	v_fmamk_f16 v12, v12, 0x2b26, v11
	v_fma_f16 v20, v19, 0x39e0, -v20
	v_fma_f16 v11, v19, 0xb9e0, -v11
	v_fmamk_f16 v19, v17, 0xb574, v18
	v_fma_f16 v16, v16, 0xbb00, -v18
	v_fma_f16 v17, v17, 0x3574, -v23
	v_add_f16_e32 v12, v12, v14
	v_add_f16_e32 v18, v20, v14
	v_add_f16_e32 v11, v11, v14
	v_fmac_f16_e32 v19, 0xb70e, v13
	v_fmac_f16_e32 v17, 0xb70e, v13
	;; [unrolled: 1-line block ×3, first 2 shown]
	v_add_f16_e32 v13, v32, v57
	v_add_f16_e32 v14, v55, v54
	v_sub_f16_e32 v20, v70, v78
	v_sub_f16_e32 v23, v76, v73
	v_add_f16_e32 v59, v16, v18
	v_sub_f16_e32 v60, v18, v16
	v_add_f16_e32 v18, v30, v53
	v_add_f16_e32 v30, v14, v13
	v_sub_f16_e32 v16, v72, v80
	v_sub_f16_e32 v31, v14, v13
	v_add_f16_e32 v32, v23, v20
	v_sub_f16_e32 v13, v13, v18
	v_sub_f16_e32 v14, v18, v14
	;; [unrolled: 3-line block ×3, first 2 shown]
	v_sub_f16_e32 v23, v16, v23
	v_add_f16_e32 v16, v32, v16
	v_add_f16_e32 v53, v22, v18
	v_mul_f16_e32 v22, 0x2b26, v14
	v_mul_f16_e32 v30, 0x3846, v30
	v_mul_f16_e32 v13, 0x3a52, v13
	v_mul_f16_e32 v32, 0xbb00, v20
	v_fmamk_f16 v18, v18, 0xbcab, v53
	v_fma_f16 v22, v31, 0x39e0, -v22
	v_fma_f16 v20, v20, 0xbb00, -v30
	v_sub_f16_e32 v56, v12, v19
	v_sub_f16_e32 v58, v11, v17
	v_fmamk_f16 v14, v14, 0x2b26, v13
	v_fma_f16 v13, v31, 0xb9e0, -v13
	v_fmamk_f16 v31, v23, 0xb574, v30
	v_fma_f16 v23, v23, 0x3574, -v32
	v_add_f16_e32 v22, v22, v18
	v_fmac_f16_e32 v20, 0xb70e, v16
	v_add_f16_e32 v54, v17, v11
	v_add_f16_e32 v55, v19, v12
	;; [unrolled: 1-line block ×6, first 2 shown]
	v_fmac_f16_e32 v31, 0xb70e, v16
	v_fmac_f16_e32 v23, 0xb70e, v16
	v_add_f16_e32 v62, v20, v22
	v_sub_f16_e32 v63, v22, v20
	v_sub_f16_e32 v16, v65, v69
	v_add_f16_e32 v17, v24, v27
	v_sub_f16_e32 v18, v64, v68
	v_sub_f16_e32 v19, v67, v66
	;; [unrolled: 3-line block ×3, first 2 shown]
	v_sub_f16_e32 v12, v17, v12
	v_add_f16_e32 v24, v19, v18
	v_add_f16_e32 v17, v17, v20
	v_sub_f16_e32 v20, v19, v18
	v_sub_f16_e32 v18, v18, v16
	;; [unrolled: 1-line block ×3, first 2 shown]
	v_add_f16_e32 v16, v24, v16
	v_add_f16_e32 v64, v21, v17
	v_mul_f16_e32 v11, 0x3a52, v11
	v_mul_f16_e32 v21, 0x2b26, v12
	;; [unrolled: 1-line block ×4, first 2 shown]
	v_fmamk_f16 v17, v17, 0xbcab, v64
	v_fmamk_f16 v12, v12, 0x2b26, v11
	v_fma_f16 v21, v22, 0x39e0, -v21
	v_fma_f16 v11, v22, 0xb9e0, -v11
	v_fmamk_f16 v22, v19, 0xb574, v20
	v_fma_f16 v18, v18, 0xbb00, -v20
	v_fma_f16 v19, v19, 0x3574, -v24
	v_add_f16_e32 v12, v12, v17
	v_add_f16_e32 v20, v21, v17
	;; [unrolled: 1-line block ×3, first 2 shown]
	v_fmac_f16_e32 v22, 0xb70e, v16
	v_fmac_f16_e32 v19, 0xb70e, v16
	;; [unrolled: 1-line block ×3, first 2 shown]
	v_sub_f16_e32 v57, v14, v31
	v_sub_f16_e32 v61, v13, v23
	v_add_f16_e32 v65, v23, v13
	v_add_f16_e32 v66, v31, v14
	v_sub_f16_e32 v67, v12, v22
	v_sub_f16_e32 v68, v11, v19
	v_add_f16_e32 v69, v18, v20
	v_sub_f16_e32 v70, v20, v18
	v_add_f16_e32 v71, v19, v11
	v_add_f16_e32 v72, v22, v12
	global_wb scope:SCOPE_SE
	s_wait_dscnt 0x0
	s_barrier_signal -1
	s_barrier_wait -1
	global_inv scope:SCOPE_SE
	ds_load_u16 v19, v0 offset:672
	ds_load_u16 v24, v0 offset:784
	ds_load_u16 v11, v0
	ds_load_u16 v14, v0 offset:112
	ds_load_u16 v18, v0 offset:224
	;; [unrolled: 1-line block ×22, first 2 shown]
	global_wb scope:SCOPE_SE
	s_wait_dscnt 0x0
	s_barrier_signal -1
	s_barrier_wait -1
	global_inv scope:SCOPE_SE
	ds_store_b16 v49, v52
	ds_store_b16 v49, v56 offset:80
	ds_store_b16 v49, v58 offset:160
	ds_store_b16 v49, v59 offset:240
	ds_store_b16 v49, v60 offset:320
	ds_store_b16 v49, v54 offset:400
	ds_store_b16 v49, v55 offset:480
	ds_store_b16 v50, v53
	ds_store_b16 v50, v57 offset:80
	ds_store_b16 v50, v61 offset:160
	ds_store_b16 v50, v62 offset:240
	ds_store_b16 v50, v63 offset:320
	ds_store_b16 v50, v65 offset:400
	ds_store_b16 v50, v66 offset:480
	;; [unrolled: 7-line block ×3, first 2 shown]
	s_and_saveexec_b32 s1, s0
	s_cbranch_execz .LBB0_43
; %bb.42:
	v_add_f16_e32 v46, v47, v46
	v_add_f16_e32 v37, v51, v37
	;; [unrolled: 1-line block ×3, first 2 shown]
	v_sub_f16_e32 v38, v40, v43
	v_sub_f16_e32 v40, v42, v41
	;; [unrolled: 1-line block ×3, first 2 shown]
	v_add_f16_e32 v41, v37, v46
	v_sub_f16_e32 v42, v37, v46
	v_sub_f16_e32 v43, v46, v6
	;; [unrolled: 1-line block ×3, first 2 shown]
	v_add_f16_e32 v44, v40, v38
	v_add_f16_e32 v6, v6, v41
	v_sub_f16_e32 v41, v40, v38
	v_sub_f16_e32 v38, v38, v39
	;; [unrolled: 1-line block ×3, first 2 shown]
	v_add_f16_e32 v39, v44, v39
	v_add_f16_e32 v15, v15, v6
	v_mul_f16_e32 v43, 0x3a52, v43
	v_mul_f16_e32 v44, 0x2b26, v37
	v_mul_f16_e32 v41, 0x3846, v41
	v_mul_f16_e32 v46, 0xbb00, v38
	v_fmamk_f16 v6, v6, 0xbcab, v15
	v_fmamk_f16 v37, v37, 0x2b26, v43
	v_fma_f16 v44, v42, 0x39e0, -v44
	v_fma_f16 v42, v42, 0xb9e0, -v43
	v_fmamk_f16 v43, v40, 0xb574, v41
	v_fma_f16 v40, v40, 0x3574, -v46
	v_fma_f16 v38, v38, 0xbb00, -v41
	v_add_f16_e32 v37, v37, v6
	v_add_f16_e32 v41, v44, v6
	v_fmac_f16_e32 v43, 0xb70e, v39
	v_add_f16_e32 v6, v42, v6
	v_fmac_f16_e32 v40, 0xb70e, v39
	v_fmac_f16_e32 v38, 0xb70e, v39
	s_delay_alu instid0(VALU_DEP_4) | instskip(SKIP_1) | instid1(VALU_DEP_4)
	v_sub_f16_e32 v39, v37, v43
	v_add_f16_e32 v37, v43, v37
	v_sub_f16_e32 v42, v6, v40
	s_delay_alu instid0(VALU_DEP_4)
	v_add_f16_e32 v44, v38, v41
	v_sub_f16_e32 v38, v41, v38
	v_add_f16_e32 v6, v40, v6
	ds_store_b16 v45, v15 offset:2240
	ds_store_b16 v45, v39 offset:2320
	;; [unrolled: 1-line block ×7, first 2 shown]
.LBB0_43:
	s_wait_alu 0xfffe
	s_or_b32 exec_lo, exec_lo, s1
	global_wb scope:SCOPE_SE
	s_wait_dscnt 0x0
	s_barrier_signal -1
	s_barrier_wait -1
	global_inv scope:SCOPE_SE
	s_and_saveexec_b32 s0, vcc_lo
	s_cbranch_execz .LBB0_45
; %bb.44:
	v_dual_mov_b32 v6, 0 :: v_dual_lshlrev_b32 v5, 2, v5
	v_lshlrev_b64_e32 v[1:2], 2, v[1:2]
	s_delay_alu instid0(VALU_DEP_2) | instskip(SKIP_1) | instid1(VALU_DEP_1)
	v_lshlrev_b64_e32 v[37:38], 2, v[5:6]
	v_lshlrev_b32_e32 v5, 2, v10
	v_lshlrev_b64_e32 v[41:42], 2, v[5:6]
	v_lshlrev_b32_e32 v5, 2, v9
	s_delay_alu instid0(VALU_DEP_4) | instskip(SKIP_2) | instid1(VALU_DEP_3)
	v_add_co_u32 v37, vcc_lo, s8, v37
	s_wait_alu 0xfffd
	v_add_co_ci_u32_e32 v38, vcc_lo, s9, v38, vcc_lo
	v_lshlrev_b64_e32 v[9:10], 2, v[5:6]
	v_add_co_u32 v41, vcc_lo, s8, v41
	s_wait_alu 0xfffd
	v_add_co_ci_u32_e32 v42, vcc_lo, s9, v42, vcc_lo
	v_lshlrev_b32_e32 v5, 2, v8
	s_delay_alu instid0(VALU_DEP_4)
	v_add_co_u32 v9, vcc_lo, s8, v9
	s_wait_alu 0xfffd
	v_add_co_ci_u32_e32 v10, vcc_lo, s9, v10, vcc_lo
	s_clause 0x2
	global_load_b128 v[37:40], v[37:38], off offset:1112
	global_load_b128 v[41:44], v[41:42], off offset:1112
	;; [unrolled: 1-line block ×3, first 2 shown]
	v_lshlrev_b64_e32 v[8:9], 2, v[5:6]
	v_lshlrev_b32_e32 v5, 2, v7
	s_delay_alu instid0(VALU_DEP_2) | instskip(SKIP_1) | instid1(VALU_DEP_3)
	v_add_co_u32 v8, vcc_lo, s8, v8
	s_wait_alu 0xfffd
	v_add_co_ci_u32_e32 v9, vcc_lo, s9, v9, vcc_lo
	global_load_b128 v[49:52], v[8:9], off offset:1112
	v_lshlrev_b64_e32 v[8:9], 2, v[5:6]
	v_mul_lo_u32 v5, s3, v3
	s_delay_alu instid0(VALU_DEP_2) | instskip(SKIP_1) | instid1(VALU_DEP_3)
	v_add_co_u32 v8, vcc_lo, s8, v8
	s_wait_alu 0xfffd
	v_add_co_ci_u32_e32 v9, vcc_lo, s9, v9, vcc_lo
	global_load_b128 v[53:56], v[8:9], off offset:1112
	ds_load_u16 v9, v0 offset:2688
	ds_load_u16 v57, v0 offset:1680
	ds_load_u16 v10, v0 offset:1568
	ds_load_u16 v15, v0 offset:1456
	ds_load_u16 v58, v0 offset:1344
	ds_load_u16 v59, v0 offset:1232
	ds_load_u16 v60, v0 offset:1120
	ds_load_u16 v61, v0 offset:1008
	ds_load_u16 v62, v0 offset:896
	ds_load_u16 v63, v0 offset:2576
	ds_load_u16 v64, v0 offset:2464
	ds_load_u16 v65, v0 offset:2352
	ds_load_u16 v66, v0 offset:2240
	ds_load_u16 v67, v0 offset:2128
	ds_load_u16 v68, v0 offset:2016
	ds_load_u16 v69, v0 offset:1904
	ds_load_u16 v70, v0 offset:1792
	ds_load_u16 v71, v0 offset:784
	ds_load_u16 v72, v0 offset:672
	ds_load_u16 v73, v0 offset:560
	ds_load_u16 v74, v0 offset:448
	ds_load_u16 v75, v0 offset:336
	ds_load_u16 v76, v0 offset:224
	ds_load_u16 v77, v0 offset:112
	ds_load_u16 v78, v0
	v_mul_lo_u32 v8, s2, v4
	v_mad_co_u64_u32 v[3:4], null, s2, v3, 0
	s_delay_alu instid0(VALU_DEP_1) | instskip(NEXT) | instid1(VALU_DEP_1)
	v_add3_u32 v4, v4, v8, v5
	v_lshlrev_b64_e32 v[3:4], 2, v[3:4]
	s_delay_alu instid0(VALU_DEP_1) | instskip(SKIP_1) | instid1(VALU_DEP_2)
	v_add_co_u32 v3, vcc_lo, s6, v3
	s_wait_alu 0xfffd
	v_add_co_ci_u32_e32 v4, vcc_lo, s7, v4, vcc_lo
	s_wait_loadcnt 0x4
	v_lshrrev_b32_e32 v0, 16, v37
	v_lshrrev_b32_e32 v79, 16, v38
	;; [unrolled: 1-line block ×4, first 2 shown]
	s_wait_loadcnt 0x3
	v_lshrrev_b32_e32 v84, 16, v41
	v_mul_f16_e32 v5, v35, v0
	v_mul_f16_e32 v8, v33, v79
	;; [unrolled: 1-line block ×4, first 2 shown]
	s_wait_dscnt 0x11
	v_mul_f16_e32 v0, v61, v0
	v_mul_f16_e32 v80, v9, v80
	;; [unrolled: 1-line block ×3, first 2 shown]
	s_wait_dscnt 0xb
	v_mul_f16_e32 v81, v67, v81
	v_lshrrev_b32_e32 v85, 16, v42
	v_lshrrev_b32_e32 v86, 16, v43
	;; [unrolled: 1-line block ×3, first 2 shown]
	v_fma_f16 v5, v37, v61, -v5
	v_fma_f16 v61, v38, v10, -v8
	v_fma_f16 v82, v40, v9, -v82
	v_fma_f16 v67, v39, v67, -v83
	v_fmac_f16_e32 v0, v35, v37
	v_fmac_f16_e32 v80, v36, v40
	;; [unrolled: 1-line block ×4, first 2 shown]
	v_mul_f16_e32 v8, v29, v84
	v_mul_f16_e32 v9, v30, v85
	;; [unrolled: 1-line block ×7, first 2 shown]
	s_wait_dscnt 0xa
	v_mul_f16_e32 v37, v68, v86
	s_wait_loadcnt 0x2
	v_lshrrev_b32_e32 v38, 16, v45
	v_lshrrev_b32_e32 v39, 16, v46
	;; [unrolled: 1-line block ×4, first 2 shown]
	v_sub_f16_e32 v84, v5, v61
	v_sub_f16_e32 v85, v82, v67
	v_add_f16_e32 v86, v61, v67
	v_sub_f16_e32 v89, v0, v79
	v_sub_f16_e32 v90, v80, v81
	v_add_f16_e32 v91, v79, v81
	v_sub_f16_e32 v92, v5, v82
	v_sub_f16_e32 v94, v61, v5
	;; [unrolled: 1-line block ×3, first 2 shown]
	v_add_f16_e32 v96, v5, v82
	v_sub_f16_e32 v97, v79, v0
	v_sub_f16_e32 v98, v81, v80
	v_add_f16_e32 v99, v0, v80
	s_wait_dscnt 0x4
	v_add_f16_e32 v5, v5, v74
	v_add_f16_e32 v100, v28, v0
	v_fma_f16 v62, v41, v62, -v8
	v_fma_f16 v101, v42, v15, -v9
	;; [unrolled: 1-line block ×4, first 2 shown]
	v_fmac_f16_e32 v34, v29, v41
	v_fmac_f16_e32 v35, v32, v44
	;; [unrolled: 1-line block ×4, first 2 shown]
	v_mul_f16_e32 v15, v24, v38
	v_mul_f16_e32 v29, v25, v39
	;; [unrolled: 1-line block ×8, first 2 shown]
	s_wait_loadcnt 0x1
	v_lshrrev_b32_e32 v41, 16, v49
	v_lshrrev_b32_e32 v42, 16, v50
	v_lshrrev_b32_e32 v43, 16, v51
	v_lshrrev_b32_e32 v44, 16, v52
	v_sub_f16_e32 v87, v0, v80
	v_sub_f16_e32 v88, v79, v81
	;; [unrolled: 1-line block ×3, first 2 shown]
	v_add_f16_e32 v68, v84, v85
	v_fma_f16 v9, -0.5, v86, v74
	v_add_f16_e32 v83, v89, v90
	v_fma_f16 v10, -0.5, v91, v28
	;; [unrolled: 2-line block ×4, first 2 shown]
	v_add_f16_e32 v5, v61, v5
	v_add_f16_e32 v28, v100, v79
	v_sub_f16_e32 v61, v62, v101
	v_sub_f16_e32 v79, v63, v33
	v_add_f16_e32 v85, v101, v33
	v_sub_f16_e32 v86, v34, v35
	v_sub_f16_e32 v90, v34, v36
	v_sub_f16_e32 v91, v35, v37
	v_add_f16_e32 v94, v36, v37
	v_sub_f16_e32 v95, v62, v63
	;; [unrolled: 4-line block ×3, first 2 shown]
	v_sub_f16_e32 v102, v37, v35
	v_add_f16_e32 v103, v34, v35
	s_wait_dscnt 0x3
	v_add_f16_e32 v62, v62, v75
	v_add_f16_e32 v34, v23, v34
	v_fma_f16 v71, v45, v71, -v15
	v_fma_f16 v58, v46, v58, -v29
	;; [unrolled: 1-line block ×4, first 2 shown]
	v_fmac_f16_e32 v32, v24, v45
	v_fmac_f16_e32 v38, v27, v48
	;; [unrolled: 1-line block ×4, first 2 shown]
	v_mul_f16_e32 v30, v19, v41
	v_mul_f16_e32 v31, v20, v42
	;; [unrolled: 1-line block ×8, first 2 shown]
	v_sub_f16_e32 v89, v36, v37
	s_wait_loadcnt 0x0
	v_lshrrev_b32_e32 v48, 16, v54
	v_lshrrev_b32_e32 v105, 16, v56
	v_fmamk_f16 v24, v92, 0x3b9c, v10
	v_fmamk_f16 v26, v93, 0xbb9c, v8
	v_fmac_f16_e32 v8, 0x3b9c, v93
	v_fmac_f16_e32 v10, 0xbb9c, v92
	v_add_f16_e32 v5, v67, v5
	v_add_f16_e32 v67, v28, v81
	;; [unrolled: 1-line block ×3, first 2 shown]
	v_fma_f16 v28, -0.5, v85, v75
	v_add_f16_e32 v79, v90, v91
	v_fma_f16 v29, -0.5, v94, v23
	v_add_f16_e32 v81, v97, v98
	v_fma_f16 v27, -0.5, v99, v75
	v_add_f16_e32 v75, v100, v102
	v_fma_f16 v23, -0.5, v103, v23
	v_add_f16_e32 v62, v101, v62
	v_add_f16_e32 v34, v34, v36
	v_sub_f16_e32 v36, v71, v58
	v_sub_f16_e32 v91, v32, v38
	;; [unrolled: 1-line block ×7, first 2 shown]
	v_add_f16_e32 v106, v71, v64
	v_sub_f16_e32 v107, v39, v32
	v_add_f16_e32 v109, v32, v38
	s_wait_dscnt 0x2
	v_add_f16_e32 v71, v71, v76
	v_add_f16_e32 v32, v18, v32
	v_fma_f16 v72, v49, v72, -v30
	v_fma_f16 v59, v50, v59, -v31
	;; [unrolled: 1-line block ×4, first 2 shown]
	v_fmac_f16_e32 v41, v19, v49
	v_fmac_f16_e32 v44, v22, v52
	;; [unrolled: 1-line block ×4, first 2 shown]
	v_sub_f16_e32 v96, v101, v33
	v_lshrrev_b32_e32 v104, 16, v55
	v_fmamk_f16 v15, v87, 0xbb9c, v9
	v_fmac_f16_e32 v9, 0x3b9c, v87
	v_sub_f16_e32 v85, v64, v69
	v_add_f16_e32 v90, v58, v69
	v_sub_f16_e32 v94, v39, v40
	v_add_f16_e32 v99, v39, v40
	v_sub_f16_e32 v101, v58, v69
	v_mul_f16_e32 v50, v17, v48
	v_mul_f16_e32 v51, v13, v105
	v_mul_f16_e32 v65, v66, v105
	v_mul_f16_e32 v48, v60, v48
	v_fmac_f16_e32 v24, 0x38b4, v93
	v_fmac_f16_e32 v26, 0x38b4, v92
	;; [unrolled: 1-line block ×4, first 2 shown]
	v_add_f16_e32 v19, v82, v5
	v_add_f16_e32 v20, v80, v67
	;; [unrolled: 1-line block ×8, first 2 shown]
	v_sub_f16_e32 v39, v72, v59
	v_sub_f16_e32 v71, v45, v46
	v_add_f16_e32 v92, v42, v43
	v_sub_f16_e32 v93, v72, v45
	v_sub_f16_e32 v98, v59, v72
	v_add_f16_e32 v102, v72, v45
	v_add_f16_e32 v105, v41, v44
	s_wait_dscnt 0x1
	v_add_f16_e32 v72, v72, v77
	v_lshrrev_b32_e32 v47, 16, v53
	v_fmamk_f16 v25, v88, 0x3b9c, v0
	v_fmac_f16_e32 v0, 0xbb9c, v88
	v_mul_f16_e32 v52, v16, v104
	v_mul_f16_e32 v70, v57, v104
	v_fmac_f16_e32 v15, 0xb8b4, v88
	v_fmac_f16_e32 v9, 0x38b4, v88
	v_add_f16_e32 v34, v36, v85
	v_fma_f16 v36, -0.5, v90, v76
	v_fma_f16 v62, -0.5, v99, v18
	v_sub_f16_e32 v85, v41, v44
	v_sub_f16_e32 v88, v41, v42
	;; [unrolled: 1-line block ×3, first 2 shown]
	v_add_f16_e32 v41, v14, v41
	v_fma_f16 v50, v54, v60, -v50
	v_fmac_f16_e32 v48, v17, v54
	v_add_f16_e32 v54, v63, v5
	v_add_f16_e32 v5, v69, v58
	;; [unrolled: 1-line block ×3, first 2 shown]
	v_fma_f16 v39, -0.5, v92, v14
	v_fma_f16 v69, -0.5, v105, v14
	v_add_f16_e32 v14, v59, v72
	v_mul_f16_e32 v49, v12, v47
	v_mul_f16_e32 v47, v73, v47
	v_fmamk_f16 v21, v86, 0xbb9c, v28
	v_fmac_f16_e32 v28, 0x3b9c, v86
	v_add_f16_e32 v82, v59, v46
	v_sub_f16_e32 v97, v59, v46
	v_fma_f16 v52, v55, v57, -v52
	v_fmac_f16_e32 v70, v16, v55
	v_fmamk_f16 v55, v91, 0xbb9c, v36
	v_fmamk_f16 v57, v100, 0x3b9c, v62
	v_fmac_f16_e32 v36, 0x3b9c, v91
	v_fmac_f16_e32 v62, 0xbb9c, v100
	v_add_f16_e32 v16, v32, v40
	v_add_f16_e32 v59, v64, v5
	;; [unrolled: 1-line block ×3, first 2 shown]
	v_sub_f16_e32 v108, v40, v38
	v_fmac_f16_e32 v21, 0xb8b4, v89
	v_fmac_f16_e32 v28, 0x38b4, v89
	v_fma_f16 v32, -0.5, v82, v77
	v_fmac_f16_e32 v55, 0xb8b4, v94
	v_fmac_f16_e32 v57, 0x38b4, v101
	;; [unrolled: 1-line block ×4, first 2 shown]
	v_add_f16_e32 v38, v38, v16
	v_add_f16_e32 v16, v45, v5
	v_fmac_f16_e32 v47, v12, v53
	v_fma_f16 v5, v53, v73, -v49
	v_fma_f16 v12, v56, v66, -v51
	v_fmac_f16_e32 v25, 0xb8b4, v87
	v_fmac_f16_e32 v0, 0x38b4, v87
	v_sub_f16_e32 v87, v42, v43
	v_fmac_f16_e32 v21, 0x34f2, v61
	v_fmac_f16_e32 v28, 0x34f2, v61
	v_fmamk_f16 v61, v85, 0xbb9c, v32
	v_fmac_f16_e32 v32, 0x3b9c, v85
	v_fmac_f16_e32 v55, 0x34f2, v34
	;; [unrolled: 1-line block ×5, first 2 shown]
	v_sub_f16_e32 v34, v5, v50
	v_sub_f16_e32 v37, v12, v52
	;; [unrolled: 1-line block ×3, first 2 shown]
	v_add_f16_e32 v41, v41, v42
	v_add_f16_e32 v42, v50, v52
	v_fmamk_f16 v64, v93, 0x3b9c, v39
	v_fmac_f16_e32 v39, 0xbb9c, v93
	v_fmac_f16_e32 v61, 0xb8b4, v87
	;; [unrolled: 1-line block ×3, first 2 shown]
	v_add_f16_e32 v34, v34, v37
	v_add_f16_e32 v37, v5, v12
	;; [unrolled: 1-line block ×4, first 2 shown]
	v_fmac_f16_e32 v64, 0x38b4, v97
	v_fmac_f16_e32 v39, 0xb8b4, v97
	;; [unrolled: 1-line block ×5, first 2 shown]
	s_wait_dscnt 0x0
	v_fma_f16 v17, -0.5, v42, v78
	v_sub_f16_e32 v42, v48, v70
	v_fma_f16 v37, -0.5, v37, v78
	v_fma_f16 v58, -0.5, v102, v77
	v_fmac_f16_e32 v64, 0x34f2, v33
	v_fmac_f16_e32 v39, 0x34f2, v33
	v_sub_f16_e32 v33, v47, v65
	v_fmamk_f16 v53, v42, 0x3b9c, v37
	v_fmac_f16_e32 v37, 0xbb9c, v42
	v_sub_f16_e32 v99, v46, v45
	v_fmamk_f16 v71, v87, 0x3b9c, v58
	v_fmac_f16_e32 v58, 0xbb9c, v87
	v_add_f16_e32 v14, v41, v43
	v_fmamk_f16 v41, v33, 0xbb9c, v17
	v_fmac_f16_e32 v53, 0xb8b4, v33
	v_fmac_f16_e32 v37, 0x38b4, v33
	;; [unrolled: 1-line block ×3, first 2 shown]
	v_lshrrev_b32_e32 v33, 3, v7
	v_sub_f16_e32 v104, v43, v44
	v_add_f16_e32 v40, v98, v99
	v_fmac_f16_e32 v71, 0xb8b4, v85
	v_fmac_f16_e32 v58, 0x38b4, v85
	v_add_f16_e32 v14, v44, v14
	v_sub_f16_e32 v43, v47, v48
	v_sub_f16_e32 v44, v65, v70
	v_mul_hi_u32 v33, 0xea0ea0f, v33
	v_fmac_f16_e32 v41, 0xb8b4, v42
	v_fmac_f16_e32 v17, 0x38b4, v42
	v_add_nc_u32_e32 v42, 56, v7
	v_fmac_f16_e32 v71, 0x34f2, v40
	v_fmac_f16_e32 v58, 0x34f2, v40
	v_sub_f16_e32 v40, v5, v12
	v_add_f16_e32 v43, v43, v44
	v_sub_f16_e32 v44, v50, v5
	v_add_f16_e32 v5, v5, v78
	v_add_f16_e32 v13, v48, v70
	;; [unrolled: 1-line block ×3, first 2 shown]
	v_fmac_f16_e32 v41, 0x34f2, v34
	v_fmac_f16_e32 v17, 0x34f2, v34
	v_lshrrev_b32_e32 v34, 3, v42
	v_add_f16_e32 v5, v50, v5
	v_lshrrev_b32_e32 v33, 1, v33
	v_fma_f16 v13, -0.5, v13, v11
	v_fma_f16 v49, -0.5, v49, v11
	v_add_f16_e32 v11, v11, v47
	v_mul_hi_u32 v34, 0xea0ea0f, v34
	v_sub_f16_e32 v46, v50, v52
	v_sub_f16_e32 v51, v52, v12
	v_add_f16_e32 v5, v52, v5
	v_mul_u32_u24_e32 v33, 0x118, v33
	v_fmamk_f16 v45, v40, 0x3b9c, v13
	v_fmac_f16_e32 v13, 0xbb9c, v40
	v_add_f16_e32 v11, v11, v48
	v_add_f16_e32 v44, v44, v51
	v_sub_f16_e32 v51, v48, v47
	v_sub_f16_e32 v56, v70, v65
	v_fmamk_f16 v66, v46, 0xbb9c, v49
	v_fmac_f16_e32 v49, 0x3b9c, v46
	v_add_f16_e32 v5, v12, v5
	v_sub_nc_u32_e32 v12, v7, v33
	v_lshrrev_b32_e32 v33, 1, v34
	v_fmac_f16_e32 v45, 0x38b4, v46
	v_fmac_f16_e32 v13, 0xb8b4, v46
	v_add_f16_e32 v11, v11, v70
	v_add_f16_e32 v51, v51, v56
	v_fmac_f16_e32 v49, 0xb8b4, v40
	v_fmac_f16_e32 v66, 0x38b4, v40
	v_lshlrev_b32_e32 v12, 2, v12
	v_add_co_u32 v40, vcc_lo, v3, v1
	v_mul_u32_u24_e32 v34, 0x118, v33
	v_fmac_f16_e32 v45, 0x34f2, v43
	v_fmac_f16_e32 v13, 0x34f2, v43
	v_add_f16_e32 v11, v65, v11
	s_wait_alu 0xfffd
	v_add_co_ci_u32_e32 v43, vcc_lo, v4, v2, vcc_lo
	v_fmac_f16_e32 v37, 0x34f2, v44
	v_fmac_f16_e32 v49, 0x34f2, v51
	;; [unrolled: 1-line block ×4, first 2 shown]
	v_add_co_u32 v1, vcc_lo, v40, v12
	v_sub_nc_u32_e32 v3, v42, v34
	s_wait_alu 0xfffd
	v_add_co_ci_u32_e32 v2, vcc_lo, 0, v43, vcc_lo
	v_pack_b32_f16 v11, v11, v5
	v_add_nc_u32_e32 v34, 0x70, v7
	v_pack_b32_f16 v12, v13, v17
	v_pack_b32_f16 v13, v49, v37
	;; [unrolled: 1-line block ×3, first 2 shown]
	v_mad_u32_u24 v5, 0x578, v33, v3
	v_pack_b32_f16 v33, v45, v41
	s_clause 0x4
	global_store_b32 v[1:2], v11, off
	global_store_b32 v[1:2], v12, off offset:1120
	global_store_b32 v[1:2], v13, off offset:2240
	;; [unrolled: 1-line block ×4, first 2 shown]
	v_lshrrev_b32_e32 v12, 3, v34
	v_pack_b32_f16 v37, v14, v16
	v_dual_mov_b32 v2, v6 :: v_dual_add_nc_u32 v1, 0x118, v5
	v_lshlrev_b64_e32 v[3:4], 2, v[5:6]
	s_delay_alu instid0(VALU_DEP_4)
	v_mul_hi_u32 v16, 0xea0ea0f, v12
	v_dual_mov_b32 v12, v6 :: v_dual_add_nc_u32 v11, 0x230, v5
	v_fmamk_f16 v72, v97, 0xbb9c, v69
	v_fmac_f16_e32 v69, 0x3b9c, v97
	v_lshlrev_b64_e32 v[1:2], 2, v[1:2]
	v_dual_mov_b32 v14, v6 :: v_dual_add_nc_u32 v13, 0x348, v5
	v_lshrrev_b32_e32 v33, 1, v16
	v_add_co_u32 v3, vcc_lo, v40, v3
	v_lshlrev_b64_e32 v[11:12], 2, v[11:12]
	v_add_nc_u32_e32 v5, 0x460, v5
	v_fmac_f16_e32 v15, 0x34f2, v68
	v_fmac_f16_e32 v9, 0x34f2, v68
	v_add_f16_e32 v68, v103, v104
	v_fmac_f16_e32 v69, 0xb8b4, v93
	s_wait_alu 0xfffd
	v_add_co_ci_u32_e32 v4, vcc_lo, v43, v4, vcc_lo
	v_pack_b32_f16 v39, v39, v32
	v_mul_u32_u24_e32 v32, 0x118, v33
	v_fmac_f16_e32 v72, 0x38b4, v93
	v_add_co_u32 v1, vcc_lo, v40, v1
	v_lshlrev_b64_e32 v[13:14], 2, v[13:14]
	s_wait_alu 0xfffd
	v_add_co_ci_u32_e32 v2, vcc_lo, v43, v2, vcc_lo
	v_add_co_u32 v11, vcc_lo, v40, v11
	v_lshlrev_b64_e32 v[16:17], 2, v[5:6]
	v_fmac_f16_e32 v69, 0x34f2, v68
	v_sub_nc_u32_e32 v5, v34, v32
	v_fmac_f16_e32 v72, 0x34f2, v68
	s_wait_alu 0xfffd
	v_add_co_ci_u32_e32 v12, vcc_lo, v43, v12, vcc_lo
	v_add_co_u32 v13, vcc_lo, v40, v13
	v_add_nc_u32_e32 v44, 0xa8, v7
	s_wait_alu 0xfffd
	v_add_co_ci_u32_e32 v14, vcc_lo, v43, v14, vcc_lo
	v_pack_b32_f16 v41, v69, v58
	v_mad_u32_u24 v5, 0x578, v33, v5
	v_add_co_u32 v16, vcc_lo, v40, v16
	v_pack_b32_f16 v34, v72, v71
	s_wait_alu 0xfffd
	v_add_co_ci_u32_e32 v17, vcc_lo, v43, v17, vcc_lo
	v_pack_b32_f16 v42, v64, v61
	s_clause 0x4
	global_store_b32 v[3:4], v37, off
	global_store_b32 v[1:2], v39, off
	;; [unrolled: 1-line block ×5, first 2 shown]
	v_lshrrev_b32_e32 v12, 3, v44
	v_fma_f16 v76, -0.5, v106, v76
	v_fma_f16 v18, -0.5, v109, v18
	v_dual_mov_b32 v2, v6 :: v_dual_add_nc_u32 v1, 0x118, v5
	v_lshlrev_b64_e32 v[32:33], 2, v[5:6]
	v_add_nc_u32_e32 v11, 0x230, v5
	v_mul_hi_u32 v16, 0xea0ea0f, v12
	v_mov_b32_e32 v12, v6
	v_fmamk_f16 v60, v94, 0x3b9c, v76
	v_fmamk_f16 v63, v101, 0xbb9c, v18
	v_fmac_f16_e32 v76, 0xbb9c, v94
	v_fmac_f16_e32 v18, 0x3b9c, v101
	v_lshlrev_b64_e32 v[1:2], 2, v[1:2]
	v_dual_mov_b32 v14, v6 :: v_dual_add_nc_u32 v13, 0x348, v5
	v_add_co_u32 v3, vcc_lo, v40, v32
	v_lshlrev_b64_e32 v[11:12], 2, v[11:12]
	v_add_nc_u32_e32 v5, 0x460, v5
	v_add_f16_e32 v80, v107, v108
	v_fmac_f16_e32 v76, 0x38b4, v91
	v_fmac_f16_e32 v18, 0xb8b4, v100
	s_wait_alu 0xfffd
	v_add_co_ci_u32_e32 v4, vcc_lo, v43, v33, vcc_lo
	v_fmac_f16_e32 v60, 0xb8b4, v91
	v_fmac_f16_e32 v63, 0x38b4, v100
	v_add_co_u32 v1, vcc_lo, v40, v1
	v_lshlrev_b64_e32 v[13:14], 2, v[13:14]
	s_wait_alu 0xfffd
	v_add_co_ci_u32_e32 v2, vcc_lo, v43, v2, vcc_lo
	v_lshrrev_b32_e32 v32, 1, v16
	v_add_co_u32 v11, vcc_lo, v40, v11
	v_lshlrev_b64_e32 v[16:17], 2, v[5:6]
	v_fmac_f16_e32 v76, 0x34f2, v67
	v_fmac_f16_e32 v18, 0x34f2, v80
	;; [unrolled: 1-line block ×4, first 2 shown]
	s_wait_alu 0xfffd
	v_add_co_ci_u32_e32 v12, vcc_lo, v43, v12, vcc_lo
	v_add_co_u32 v13, vcc_lo, v40, v13
	v_pack_b32_f16 v34, v38, v59
	v_mul_u32_u24_e32 v33, 0x118, v32
	v_add_nc_u32_e32 v7, 0xe0, v7
	v_pack_b32_f16 v36, v62, v36
	s_wait_alu 0xfffd
	v_add_co_ci_u32_e32 v14, vcc_lo, v43, v14, vcc_lo
	v_pack_b32_f16 v18, v18, v76
	v_add_co_u32 v16, vcc_lo, v40, v16
	v_fmamk_f16 v22, v95, 0x3b9c, v29
	v_fmac_f16_e32 v29, 0xbb9c, v95
	v_pack_b32_f16 v37, v63, v60
	s_wait_alu 0xfffd
	v_add_co_ci_u32_e32 v17, vcc_lo, v43, v17, vcc_lo
	v_pack_b32_f16 v38, v57, v55
	v_sub_nc_u32_e32 v5, v44, v33
	s_clause 0x4
	global_store_b32 v[3:4], v34, off
	global_store_b32 v[1:2], v36, off
	;; [unrolled: 1-line block ×5, first 2 shown]
	v_lshrrev_b32_e32 v16, 3, v7
	v_fmac_f16_e32 v29, 0xb8b4, v96
	v_mov_b32_e32 v2, v6
	v_mad_u32_u24 v5, 0x578, v32, v5
	v_mov_b32_e32 v12, v6
	v_mul_hi_u32 v16, 0xea0ea0f, v16
	v_fmac_f16_e32 v29, 0x34f2, v79
	v_fmamk_f16 v30, v89, 0x3b9c, v27
	v_add_nc_u32_e32 v1, 0x118, v5
	v_lshlrev_b64_e32 v[32:33], 2, v[5:6]
	v_add_nc_u32_e32 v11, 0x230, v5
	v_add_nc_u32_e32 v13, 0x348, v5
	v_pack_b32_f16 v28, v29, v28
	v_add_nc_u32_e32 v5, 0x460, v5
	v_lshrrev_b32_e32 v29, 1, v16
	v_fmamk_f16 v31, v96, 0xbb9c, v23
	v_fmac_f16_e32 v27, 0xbb9c, v89
	v_fmac_f16_e32 v23, 0x3b9c, v96
	v_lshlrev_b64_e32 v[1:2], 2, v[1:2]
	v_mov_b32_e32 v14, v6
	v_add_co_u32 v3, vcc_lo, v40, v32
	v_lshlrev_b64_e32 v[11:12], 2, v[11:12]
	v_lshlrev_b64_e32 v[16:17], 2, v[5:6]
	v_mul_u32_u24_e32 v5, 0x118, v29
	v_fmac_f16_e32 v27, 0x38b4, v86
	v_fmac_f16_e32 v23, 0xb8b4, v95
	s_wait_alu 0xfffd
	v_add_co_ci_u32_e32 v4, vcc_lo, v43, v33, vcc_lo
	v_fmac_f16_e32 v30, 0xb8b4, v86
	v_fmac_f16_e32 v31, 0x38b4, v95
	v_add_co_u32 v1, vcc_lo, v40, v1
	v_lshlrev_b64_e32 v[13:14], 2, v[13:14]
	v_fmac_f16_e32 v22, 0x38b4, v96
	s_wait_alu 0xfffd
	v_add_co_ci_u32_e32 v2, vcc_lo, v43, v2, vcc_lo
	v_sub_nc_u32_e32 v5, v7, v5
	v_add_co_u32 v11, vcc_lo, v40, v11
	v_fmac_f16_e32 v27, 0x34f2, v81
	v_fmac_f16_e32 v23, 0x34f2, v75
	;; [unrolled: 1-line block ×4, first 2 shown]
	s_wait_alu 0xfffd
	v_add_co_ci_u32_e32 v12, vcc_lo, v43, v12, vcc_lo
	v_fmac_f16_e32 v22, 0x34f2, v79
	v_add_co_u32 v13, vcc_lo, v40, v13
	v_pack_b32_f16 v18, v35, v54
	v_mad_u32_u24 v5, 0x578, v29, v5
	s_wait_alu 0xfffd
	v_add_co_ci_u32_e32 v14, vcc_lo, v43, v14, vcc_lo
	v_pack_b32_f16 v23, v23, v27
	v_add_co_u32 v16, vcc_lo, v40, v16
	v_pack_b32_f16 v27, v31, v30
	s_wait_alu 0xfffd
	v_add_co_ci_u32_e32 v17, vcc_lo, v43, v17, vcc_lo
	v_pack_b32_f16 v7, v22, v21
	s_clause 0x4
	global_store_b32 v[3:4], v18, off
	global_store_b32 v[1:2], v28, off
	;; [unrolled: 1-line block ×5, first 2 shown]
	v_dual_mov_b32 v14, v6 :: v_dual_add_nc_u32 v3, 0x118, v5
	v_mov_b32_e32 v4, v6
	v_lshlrev_b64_e32 v[1:2], 2, v[5:6]
	v_dual_mov_b32 v12, v6 :: v_dual_add_nc_u32 v11, 0x230, v5
	v_fmac_f16_e32 v10, 0x34f2, v83
	s_delay_alu instid0(VALU_DEP_4)
	v_lshlrev_b64_e32 v[3:4], 2, v[3:4]
	v_add_nc_u32_e32 v13, 0x348, v5
	v_add_co_u32 v1, vcc_lo, v40, v1
	v_lshlrev_b64_e32 v[11:12], 2, v[11:12]
	v_add_nc_u32_e32 v5, 0x460, v5
	s_wait_alu 0xfffd
	v_add_co_ci_u32_e32 v2, vcc_lo, v43, v2, vcc_lo
	v_add_co_u32 v3, vcc_lo, v40, v3
	v_pack_b32_f16 v17, v10, v9
	v_lshlrev_b64_e32 v[9:10], 2, v[13:14]
	s_wait_alu 0xfffd
	v_add_co_ci_u32_e32 v4, vcc_lo, v43, v4, vcc_lo
	v_fmac_f16_e32 v0, 0x34f2, v84
	v_fmac_f16_e32 v8, 0x34f2, v74
	v_add_co_u32 v11, vcc_lo, v40, v11
	v_lshlrev_b64_e32 v[5:6], 2, v[5:6]
	v_fmac_f16_e32 v25, 0x34f2, v84
	v_fmac_f16_e32 v26, 0x34f2, v74
	s_wait_alu 0xfffd
	v_add_co_ci_u32_e32 v12, vcc_lo, v43, v12, vcc_lo
	v_fmac_f16_e32 v24, 0x34f2, v83
	v_add_co_u32 v7, vcc_lo, v40, v9
	v_pack_b32_f16 v16, v20, v19
	v_pack_b32_f16 v0, v8, v0
	s_wait_alu 0xfffd
	v_add_co_ci_u32_e32 v8, vcc_lo, v43, v10, vcc_lo
	v_add_co_u32 v5, vcc_lo, v40, v5
	v_pack_b32_f16 v9, v26, v25
	s_wait_alu 0xfffd
	v_add_co_ci_u32_e32 v6, vcc_lo, v43, v6, vcc_lo
	v_pack_b32_f16 v10, v24, v15
	s_clause 0x4
	global_store_b32 v[1:2], v16, off
	global_store_b32 v[3:4], v17, off
	;; [unrolled: 1-line block ×5, first 2 shown]
.LBB0_45:
	s_nop 0
	s_sendmsg sendmsg(MSG_DEALLOC_VGPRS)
	s_endpgm
	.section	.rodata,"a",@progbits
	.p2align	6, 0x0
	.amdhsa_kernel fft_rtc_back_len1400_factors_2_2_2_5_7_5_wgs_56_tpt_56_halfLds_half_op_CI_CI_unitstride_sbrr_dirReg
		.amdhsa_group_segment_fixed_size 0
		.amdhsa_private_segment_fixed_size 0
		.amdhsa_kernarg_size 104
		.amdhsa_user_sgpr_count 2
		.amdhsa_user_sgpr_dispatch_ptr 0
		.amdhsa_user_sgpr_queue_ptr 0
		.amdhsa_user_sgpr_kernarg_segment_ptr 1
		.amdhsa_user_sgpr_dispatch_id 0
		.amdhsa_user_sgpr_private_segment_size 0
		.amdhsa_wavefront_size32 1
		.amdhsa_uses_dynamic_stack 0
		.amdhsa_enable_private_segment 0
		.amdhsa_system_sgpr_workgroup_id_x 1
		.amdhsa_system_sgpr_workgroup_id_y 0
		.amdhsa_system_sgpr_workgroup_id_z 0
		.amdhsa_system_sgpr_workgroup_info 0
		.amdhsa_system_vgpr_workitem_id 0
		.amdhsa_next_free_vgpr 134
		.amdhsa_next_free_sgpr 39
		.amdhsa_reserve_vcc 1
		.amdhsa_float_round_mode_32 0
		.amdhsa_float_round_mode_16_64 0
		.amdhsa_float_denorm_mode_32 3
		.amdhsa_float_denorm_mode_16_64 3
		.amdhsa_fp16_overflow 0
		.amdhsa_workgroup_processor_mode 1
		.amdhsa_memory_ordered 1
		.amdhsa_forward_progress 0
		.amdhsa_round_robin_scheduling 0
		.amdhsa_exception_fp_ieee_invalid_op 0
		.amdhsa_exception_fp_denorm_src 0
		.amdhsa_exception_fp_ieee_div_zero 0
		.amdhsa_exception_fp_ieee_overflow 0
		.amdhsa_exception_fp_ieee_underflow 0
		.amdhsa_exception_fp_ieee_inexact 0
		.amdhsa_exception_int_div_zero 0
	.end_amdhsa_kernel
	.text
.Lfunc_end0:
	.size	fft_rtc_back_len1400_factors_2_2_2_5_7_5_wgs_56_tpt_56_halfLds_half_op_CI_CI_unitstride_sbrr_dirReg, .Lfunc_end0-fft_rtc_back_len1400_factors_2_2_2_5_7_5_wgs_56_tpt_56_halfLds_half_op_CI_CI_unitstride_sbrr_dirReg
                                        ; -- End function
	.section	.AMDGPU.csdata,"",@progbits
; Kernel info:
; codeLenInByte = 18492
; NumSgprs: 41
; NumVgprs: 134
; ScratchSize: 0
; MemoryBound: 0
; FloatMode: 240
; IeeeMode: 1
; LDSByteSize: 0 bytes/workgroup (compile time only)
; SGPRBlocks: 5
; VGPRBlocks: 16
; NumSGPRsForWavesPerEU: 41
; NumVGPRsForWavesPerEU: 134
; Occupancy: 10
; WaveLimiterHint : 1
; COMPUTE_PGM_RSRC2:SCRATCH_EN: 0
; COMPUTE_PGM_RSRC2:USER_SGPR: 2
; COMPUTE_PGM_RSRC2:TRAP_HANDLER: 0
; COMPUTE_PGM_RSRC2:TGID_X_EN: 1
; COMPUTE_PGM_RSRC2:TGID_Y_EN: 0
; COMPUTE_PGM_RSRC2:TGID_Z_EN: 0
; COMPUTE_PGM_RSRC2:TIDIG_COMP_CNT: 0
	.text
	.p2alignl 7, 3214868480
	.fill 96, 4, 3214868480
	.type	__hip_cuid_9cc8cc2c2c68f273,@object ; @__hip_cuid_9cc8cc2c2c68f273
	.section	.bss,"aw",@nobits
	.globl	__hip_cuid_9cc8cc2c2c68f273
__hip_cuid_9cc8cc2c2c68f273:
	.byte	0                               ; 0x0
	.size	__hip_cuid_9cc8cc2c2c68f273, 1

	.ident	"AMD clang version 19.0.0git (https://github.com/RadeonOpenCompute/llvm-project roc-6.4.0 25133 c7fe45cf4b819c5991fe208aaa96edf142730f1d)"
	.section	".note.GNU-stack","",@progbits
	.addrsig
	.addrsig_sym __hip_cuid_9cc8cc2c2c68f273
	.amdgpu_metadata
---
amdhsa.kernels:
  - .args:
      - .actual_access:  read_only
        .address_space:  global
        .offset:         0
        .size:           8
        .value_kind:     global_buffer
      - .offset:         8
        .size:           8
        .value_kind:     by_value
      - .actual_access:  read_only
        .address_space:  global
        .offset:         16
        .size:           8
        .value_kind:     global_buffer
      - .actual_access:  read_only
        .address_space:  global
        .offset:         24
        .size:           8
        .value_kind:     global_buffer
      - .actual_access:  read_only
        .address_space:  global
        .offset:         32
        .size:           8
        .value_kind:     global_buffer
      - .offset:         40
        .size:           8
        .value_kind:     by_value
      - .actual_access:  read_only
        .address_space:  global
        .offset:         48
        .size:           8
        .value_kind:     global_buffer
      - .actual_access:  read_only
        .address_space:  global
        .offset:         56
        .size:           8
        .value_kind:     global_buffer
      - .offset:         64
        .size:           4
        .value_kind:     by_value
      - .actual_access:  read_only
        .address_space:  global
        .offset:         72
        .size:           8
        .value_kind:     global_buffer
      - .actual_access:  read_only
        .address_space:  global
        .offset:         80
        .size:           8
        .value_kind:     global_buffer
      - .actual_access:  read_only
        .address_space:  global
        .offset:         88
        .size:           8
        .value_kind:     global_buffer
      - .actual_access:  write_only
        .address_space:  global
        .offset:         96
        .size:           8
        .value_kind:     global_buffer
    .group_segment_fixed_size: 0
    .kernarg_segment_align: 8
    .kernarg_segment_size: 104
    .language:       OpenCL C
    .language_version:
      - 2
      - 0
    .max_flat_workgroup_size: 56
    .name:           fft_rtc_back_len1400_factors_2_2_2_5_7_5_wgs_56_tpt_56_halfLds_half_op_CI_CI_unitstride_sbrr_dirReg
    .private_segment_fixed_size: 0
    .sgpr_count:     41
    .sgpr_spill_count: 0
    .symbol:         fft_rtc_back_len1400_factors_2_2_2_5_7_5_wgs_56_tpt_56_halfLds_half_op_CI_CI_unitstride_sbrr_dirReg.kd
    .uniform_work_group_size: 1
    .uses_dynamic_stack: false
    .vgpr_count:     134
    .vgpr_spill_count: 0
    .wavefront_size: 32
    .workgroup_processor_mode: 1
amdhsa.target:   amdgcn-amd-amdhsa--gfx1201
amdhsa.version:
  - 1
  - 2
...

	.end_amdgpu_metadata
